;; amdgpu-corpus repo=ROCm/rocFFT kind=compiled arch=gfx1030 opt=O3
	.text
	.amdgcn_target "amdgcn-amd-amdhsa--gfx1030"
	.amdhsa_code_object_version 6
	.protected	bluestein_single_back_len1224_dim1_dp_op_CI_CI ; -- Begin function bluestein_single_back_len1224_dim1_dp_op_CI_CI
	.globl	bluestein_single_back_len1224_dim1_dp_op_CI_CI
	.p2align	8
	.type	bluestein_single_back_len1224_dim1_dp_op_CI_CI,@function
bluestein_single_back_len1224_dim1_dp_op_CI_CI: ; @bluestein_single_back_len1224_dim1_dp_op_CI_CI
; %bb.0:
	v_mul_u32_u24_e32 v1, 0x283, v0
	s_mov_b64 s[62:63], s[2:3]
	s_mov_b64 s[60:61], s[0:1]
	s_load_dwordx4 s[0:3], s[4:5], 0x28
	s_add_u32 s60, s60, s7
	v_lshrrev_b32_e32 v1, 16, v1
	s_addc_u32 s61, s61, 0
	v_mov_b32_e32 v4, 0
	v_lshl_add_u32 v3, s6, 1, v1
	v_mov_b32_e32 v2, v3
	buffer_store_dword v2, off, s[60:63], 0 ; 4-byte Folded Spill
	buffer_store_dword v3, off, s[60:63], 0 offset:4 ; 4-byte Folded Spill
	s_waitcnt lgkmcnt(0)
	v_cmp_gt_u64_e32 vcc_lo, s[0:1], v[3:4]
	s_and_saveexec_b32 s0, vcc_lo
	s_cbranch_execz .LBB0_15
; %bb.1:
	v_mul_lo_u16 v2, 0x66, v1
	v_and_b32_e32 v1, 1, v1
	s_clause 0x1
	s_load_dwordx2 s[12:13], s[4:5], 0x0
	s_load_dwordx2 s[14:15], s[4:5], 0x38
	v_sub_nc_u16 v0, v0, v2
	v_cmp_eq_u32_e32 vcc_lo, 1, v1
	v_and_b32_e32 v255, 0xffff, v0
	v_cndmask_b32_e64 v202, 0, 0x4c8, vcc_lo
	v_cmp_gt_u16_e32 vcc_lo, 0x48, v0
	v_lshlrev_b32_e32 v0, 4, v202
	buffer_store_dword v0, off, s[60:63], 0 offset:8 ; 4-byte Folded Spill
	v_or_b32_e32 v0, 0x480, v255
	buffer_store_dword v0, off, s[60:63], 0 offset:44 ; 4-byte Folded Spill
	s_and_saveexec_b32 s1, vcc_lo
	s_cbranch_execz .LBB0_3
; %bb.2:
	s_load_dwordx2 s[6:7], s[4:5], 0x18
	v_lshlrev_b32_e32 v152, 4, v255
	v_or_b32_e32 v58, 0x480, v255
	s_waitcnt lgkmcnt(0)
	global_load_dwordx4 v[0:3], v152, s[12:13] offset:1152
	v_add_co_u32 v4, s0, s12, v152
	v_add_co_ci_u32_e64 v5, null, s13, 0, s0
	v_lshlrev_b32_e32 v10, 4, v58
	v_add_co_u32 v18, s0, 0x800, v4
	v_add_co_ci_u32_e64 v19, s0, 0, v5, s0
	v_add_co_u32 v26, s0, 0x1000, v4
	v_add_co_ci_u32_e64 v27, s0, 0, v5, s0
	s_load_dwordx4 s[8:11], s[6:7], 0x0
	s_clause 0x1
	buffer_load_dword v6, off, s[60:63], 0
	buffer_load_dword v7, off, s[60:63], 0 offset:4
	v_add_co_u32 v34, s0, 0x1800, v4
	v_add_co_ci_u32_e64 v35, s0, 0, v5, s0
	v_add_co_u32 v38, s0, 0x2000, v4
	v_add_co_ci_u32_e64 v39, s0, 0, v5, s0
	;; [unrolled: 2-line block ×4, first 2 shown]
	s_waitcnt lgkmcnt(0)
	v_mad_u64_u32 v[52:53], null, s8, v255, 0
	s_mul_i32 s6, s9, 0x480
	s_mul_hi_u32 s7, s8, 0x480
	s_add_i32 s7, s7, s6
	v_mov_b32_e32 v41, v53
	s_waitcnt vmcnt(1)
	v_mov_b32_e32 v42, v6
	s_clause 0x7
	global_load_dwordx4 v[6:9], v152, s[12:13]
	global_load_dwordx4 v[10:13], v10, s[12:13]
	global_load_dwordx4 v[14:17], v[18:19], off offset:256
	global_load_dwordx4 v[18:21], v[18:19], off offset:1408
	;; [unrolled: 1-line block ×6, first 2 shown]
	v_mad_u64_u32 v[50:51], null, s10, v42, 0
	v_mad_u64_u32 v[56:57], null, s9, v255, v[41:42]
	v_mov_b32_e32 v40, v51
	v_mad_u64_u32 v[53:54], null, s11, v42, v[40:41]
	v_mad_u64_u32 v[54:55], null, s8, v58, 0
	s_mulk_i32 s8, 0x480
	s_clause 0x2
	global_load_dwordx4 v[38:41], v[38:39], off offset:1024
	global_load_dwordx4 v[42:45], v[46:47], off offset:128
	;; [unrolled: 1-line block ×3, first 2 shown]
	v_mov_b32_e32 v51, v53
	v_mov_b32_e32 v53, v56
	v_mad_u64_u32 v[55:56], null, s9, v58, v[55:56]
	v_lshlrev_b64 v[50:51], 4, v[50:51]
	v_lshlrev_b64 v[52:53], 4, v[52:53]
	v_add_co_u32 v60, s0, s2, v50
	v_add_co_ci_u32_e64 v61, s0, s3, v51, s0
	v_lshlrev_b64 v[50:51], 4, v[54:55]
	v_add_co_u32 v56, s0, v60, v52
	v_add_co_ci_u32_e64 v57, s0, v61, v53, s0
	v_add_co_u32 v58, s0, v56, s8
	v_add_co_ci_u32_e64 v59, s0, s7, v57, s0
	v_add_co_u32 v62, s0, v58, s8
	v_add_co_ci_u32_e64 v63, s0, s7, v59, s0
	v_add_co_u32 v50, s0, v60, v50
	v_add_co_ci_u32_e64 v51, s0, v61, v51, s0
	v_add_co_u32 v66, s0, v62, s8
	v_add_co_ci_u32_e64 v67, s0, s7, v63, s0
	global_load_dwordx4 v[50:53], v[50:51], off
	v_add_co_u32 v70, s0, v66, s8
	v_add_co_ci_u32_e64 v71, s0, s7, v67, s0
	s_clause 0x1
	global_load_dwordx4 v[54:57], v[56:57], off
	global_load_dwordx4 v[58:61], v[58:59], off
	v_add_co_u32 v74, s0, v70, s8
	v_add_co_ci_u32_e64 v75, s0, s7, v71, s0
	global_load_dwordx4 v[62:65], v[62:63], off
	v_add_co_u32 v78, s0, v74, s8
	v_add_co_ci_u32_e64 v79, s0, s7, v75, s0
	s_clause 0x1
	global_load_dwordx4 v[66:69], v[66:67], off
	global_load_dwordx4 v[70:73], v[70:71], off
	v_add_co_u32 v82, s0, v78, s8
	v_add_co_ci_u32_e64 v83, s0, s7, v79, s0
	global_load_dwordx4 v[74:77], v[74:75], off
	v_add_co_u32 v86, s0, v82, s8
	v_add_co_ci_u32_e64 v87, s0, s7, v83, s0
	;; [unrolled: 3-line block ×7, first 2 shown]
	v_add_co_u32 v126, s0, 0x3800, v4
	v_add_co_ci_u32_e64 v127, s0, 0, v5, s0
	v_add_co_u32 v122, s0, v118, s8
	v_add_co_ci_u32_e64 v123, s0, s7, v119, s0
	v_add_co_u32 v4, s0, 0x4000, v4
	v_add_co_ci_u32_e64 v5, s0, 0, v5, s0
	v_add_co_u32 v134, s0, v122, s8
	global_load_dwordx4 v[98:101], v[98:99], off
	global_load_dwordx4 v[102:105], v[102:103], off
	s_clause 0x1
	global_load_dwordx4 v[106:109], v[110:111], off offset:384
	global_load_dwordx4 v[110:113], v[110:111], off offset:1536
	global_load_dwordx4 v[114:117], v[118:119], off
	v_add_co_ci_u32_e64 v135, s0, s7, v123, s0
	global_load_dwordx4 v[118:121], v[126:127], off offset:640
	global_load_dwordx4 v[122:125], v[122:123], off
	s_clause 0x1
	global_load_dwordx4 v[126:129], v[126:127], off offset:1792
	global_load_dwordx4 v[130:133], v[4:5], off offset:896
	global_load_dwordx4 v[134:137], v[134:135], off
	s_waitcnt vmcnt(21)
	v_mul_f64 v[138:139], v[52:53], v[12:13]
	v_mul_f64 v[150:151], v[50:51], v[12:13]
	s_waitcnt vmcnt(20)
	v_mul_f64 v[4:5], v[56:57], v[8:9]
	v_mul_f64 v[8:9], v[54:55], v[8:9]
	;; [unrolled: 3-line block ×6, first 2 shown]
	v_fma_f64 v[2:3], v[54:55], v[6:7], v[4:5]
	v_fma_f64 v[4:5], v[56:57], v[6:7], -v[8:9]
	s_waitcnt vmcnt(15)
	v_mul_f64 v[8:9], v[76:77], v[28:29]
	v_mul_f64 v[28:29], v[74:75], v[28:29]
	v_fma_f64 v[54:55], v[58:59], v[0:1], v[140:141]
	v_fma_f64 v[56:57], v[60:61], v[0:1], -v[142:143]
	s_waitcnt vmcnt(14)
	v_mul_f64 v[0:1], v[80:81], v[32:33]
	v_mul_f64 v[32:33], v[78:79], v[32:33]
	v_fma_f64 v[6:7], v[50:51], v[10:11], v[138:139]
	s_waitcnt vmcnt(13)
	v_mul_f64 v[50:51], v[84:85], v[36:37]
	v_mul_f64 v[36:37], v[82:83], v[36:37]
	s_waitcnt vmcnt(12)
	v_mul_f64 v[58:59], v[88:89], v[40:41]
	v_mul_f64 v[40:41], v[86:87], v[40:41]
	v_fma_f64 v[12:13], v[62:63], v[14:15], v[144:145]
	s_waitcnt vmcnt(11)
	v_mul_f64 v[60:61], v[92:93], v[44:45]
	v_mul_f64 v[44:45], v[90:91], v[44:45]
	v_fma_f64 v[14:15], v[64:65], v[14:15], -v[16:17]
	v_fma_f64 v[16:17], v[66:67], v[18:19], v[146:147]
	v_fma_f64 v[18:19], v[68:69], v[18:19], -v[20:21]
	s_waitcnt vmcnt(10)
	v_mul_f64 v[62:63], v[96:97], v[48:49]
	v_mul_f64 v[48:49], v[94:95], v[48:49]
	v_fma_f64 v[20:21], v[70:71], v[22:23], v[148:149]
	v_fma_f64 v[22:23], v[72:73], v[22:23], -v[24:25]
	v_fma_f64 v[24:25], v[74:75], v[26:27], v[8:9]
	v_fma_f64 v[26:27], v[76:77], v[26:27], -v[28:29]
	v_fma_f64 v[8:9], v[52:53], v[10:11], -v[150:151]
	v_fma_f64 v[28:29], v[78:79], v[30:31], v[0:1]
	v_fma_f64 v[30:31], v[80:81], v[30:31], -v[32:33]
	v_lshlrev_b32_e32 v1, 4, v202
	v_fma_f64 v[32:33], v[82:83], v[34:35], v[50:51]
	v_fma_f64 v[34:35], v[84:85], v[34:35], -v[36:37]
	v_fma_f64 v[36:37], v[86:87], v[38:39], v[58:59]
	v_fma_f64 v[38:39], v[88:89], v[38:39], -v[40:41]
	v_lshl_add_u32 v0, v255, 4, v1
	s_waitcnt vmcnt(7)
	v_mul_f64 v[64:65], v[100:101], v[108:109]
	v_mul_f64 v[66:67], v[98:99], v[108:109]
	s_waitcnt vmcnt(6)
	v_mul_f64 v[68:69], v[104:105], v[112:113]
	v_mul_f64 v[70:71], v[102:103], v[112:113]
	;; [unrolled: 3-line block ×5, first 2 shown]
	v_fma_f64 v[40:41], v[90:91], v[42:43], v[60:61]
	v_fma_f64 v[42:43], v[92:93], v[42:43], -v[44:45]
	v_fma_f64 v[44:45], v[94:95], v[46:47], v[62:63]
	v_fma_f64 v[46:47], v[96:97], v[46:47], -v[48:49]
	v_add_nc_u32_e32 v1, v1, v152
	v_fma_f64 v[48:49], v[98:99], v[106:107], v[64:65]
	v_fma_f64 v[50:51], v[100:101], v[106:107], -v[66:67]
	v_fma_f64 v[58:59], v[102:103], v[110:111], v[68:69]
	v_fma_f64 v[60:61], v[104:105], v[110:111], -v[70:71]
	;; [unrolled: 2-line block ×5, first 2 shown]
	ds_write_b128 v0, v[2:5]
	ds_write_b128 v1, v[54:57] offset:1152
	ds_write_b128 v1, v[12:15] offset:2304
	ds_write_b128 v1, v[16:19] offset:3456
	ds_write_b128 v1, v[20:23] offset:4608
	ds_write_b128 v1, v[24:27] offset:5760
	ds_write_b128 v1, v[28:31] offset:6912
	ds_write_b128 v1, v[32:35] offset:8064
	ds_write_b128 v1, v[36:39] offset:9216
	ds_write_b128 v1, v[40:43] offset:10368
	ds_write_b128 v1, v[44:47] offset:11520
	ds_write_b128 v1, v[48:51] offset:12672
	ds_write_b128 v1, v[58:61] offset:13824
	ds_write_b128 v1, v[62:65] offset:14976
	ds_write_b128 v1, v[66:69] offset:16128
	ds_write_b128 v1, v[70:73] offset:17280
	ds_write_b128 v1, v[6:9] offset:18432
.LBB0_3:
	s_or_b32 exec_lo, exec_lo, s1
	s_clause 0x1
	s_load_dwordx2 s[0:1], s[4:5], 0x20
	s_load_dwordx2 s[2:3], s[4:5], 0x8
	s_waitcnt lgkmcnt(0)
	s_waitcnt_vscnt null, 0x0
	s_barrier
	buffer_gl0_inv
                                        ; implicit-def: $vgpr20_vgpr21
                                        ; implicit-def: $vgpr44_vgpr45
                                        ; implicit-def: $vgpr48_vgpr49
                                        ; implicit-def: $vgpr64_vgpr65
                                        ; implicit-def: $vgpr76_vgpr77
                                        ; implicit-def: $vgpr60_vgpr61
                                        ; implicit-def: $vgpr40_vgpr41
                                        ; implicit-def: $vgpr36_vgpr37
                                        ; implicit-def: $vgpr32_vgpr33
                                        ; implicit-def: $vgpr28_vgpr29
                                        ; implicit-def: $vgpr24_vgpr25
                                        ; implicit-def: $vgpr84_vgpr85
                                        ; implicit-def: $vgpr80_vgpr81
                                        ; implicit-def: $vgpr72_vgpr73
                                        ; implicit-def: $vgpr68_vgpr69
                                        ; implicit-def: $vgpr56_vgpr57
                                        ; implicit-def: $vgpr52_vgpr53
	s_and_saveexec_b32 s4, vcc_lo
	s_cbranch_execz .LBB0_5
; %bb.4:
	v_lshlrev_b32_e32 v0, 4, v255
	v_lshl_add_u32 v0, v202, 4, v0
	ds_read_b128 v[20:23], v0
	ds_read_b128 v[52:55], v0 offset:1152
	ds_read_b128 v[56:59], v0 offset:2304
	;; [unrolled: 1-line block ×16, first 2 shown]
.LBB0_5:
	s_or_b32 exec_lo, exec_lo, s4
	s_waitcnt lgkmcnt(0)
	v_add_f64 v[146:147], v[54:55], -v[26:27]
	s_mov_b32 s4, 0x5d8e7cdc
	s_mov_b32 s5, 0xbfd71e95
	v_add_f64 v[92:93], v[58:59], -v[30:31]
	v_add_f64 v[90:91], v[56:57], -v[28:29]
	s_mov_b32 s6, 0x2a9d6da3
	s_mov_b32 s7, 0xbfe58eea
	v_add_f64 v[98:99], v[46:47], -v[34:35]
	;; [unrolled: 4-line block ×4, first 2 shown]
	v_add_f64 v[144:145], v[24:25], v[52:53]
	v_add_f64 v[203:204], v[26:27], v[54:55]
	s_mov_b32 s8, 0x370991
	s_mov_b32 s9, 0x3fedd6d0
	v_add_f64 v[88:89], v[28:29], v[56:57]
	v_add_f64 v[104:105], v[30:31], v[58:59]
	v_mul_f64 v[0:1], v[146:147], s[4:5]
	s_mov_b32 s16, 0x75d4884
	s_mov_b32 s17, 0x3fe7a5f6
	v_mul_f64 v[4:5], v[92:93], s[6:7]
	v_mul_f64 v[6:7], v[90:91], s[6:7]
	v_add_f64 v[130:131], v[46:47], v[34:35]
	s_mov_b32 s18, 0x2b2883cd
	v_mul_f64 v[8:9], v[98:99], s[10:11]
	v_mul_f64 v[12:13], v[96:97], s[10:11]
	s_mov_b32 s19, 0x3fdc86fa
	v_add_f64 v[136:137], v[50:51], v[38:39]
	v_mul_f64 v[10:11], v[122:123], s[20:21]
	v_mul_f64 v[14:15], v[102:103], s[20:21]
	s_mov_b32 s22, 0x3259b75e
	s_mov_b32 s23, 0x3fb79ee6
	v_mul_f64 v[219:220], v[207:208], s[4:5]
	v_add_f64 v[138:139], v[70:71], -v[42:43]
	s_mov_b32 s26, 0x923c349f
	s_mov_b32 s27, 0xbfeec746
	v_add_f64 v[94:95], v[44:45], v[32:33]
	v_add_f64 v[100:101], v[48:49], v[36:37]
	;; [unrolled: 1-line block ×3, first 2 shown]
	buffer_store_dword v0, off, s[60:63], 0 offset:208 ; 4-byte Folded Spill
	buffer_store_dword v1, off, s[60:63], 0 offset:212 ; 4-byte Folded Spill
	buffer_store_dword v4, off, s[60:63], 0 offset:12 ; 4-byte Folded Spill
	buffer_store_dword v5, off, s[60:63], 0 offset:16 ; 4-byte Folded Spill
	buffer_store_dword v6, off, s[60:63], 0 offset:28 ; 4-byte Folded Spill
	buffer_store_dword v7, off, s[60:63], 0 offset:32 ; 4-byte Folded Spill
	buffer_store_dword v8, off, s[60:63], 0 offset:20 ; 4-byte Folded Spill
	buffer_store_dword v9, off, s[60:63], 0 offset:24 ; 4-byte Folded Spill
	buffer_store_dword v12, off, s[60:63], 0 offset:200 ; 4-byte Folded Spill
	buffer_store_dword v13, off, s[60:63], 0 offset:204 ; 4-byte Folded Spill
	buffer_store_dword v10, off, s[60:63], 0 offset:192 ; 4-byte Folded Spill
	buffer_store_dword v11, off, s[60:63], 0 offset:196 ; 4-byte Folded Spill
	buffer_store_dword v14, off, s[60:63], 0 offset:224 ; 4-byte Folded Spill
	buffer_store_dword v15, off, s[60:63], 0 offset:228 ; 4-byte Folded Spill
	s_mov_b32 s24, 0xc61f0d01
	s_mov_b32 s25, 0xbfd183b1
	v_fma_f64 v[2:3], v[203:204], s[8:9], -v[219:220]
	v_add_f64 v[112:113], v[68:69], -v[40:41]
	v_add_f64 v[140:141], v[42:43], v[70:71]
	v_add_f64 v[114:115], v[74:75], -v[62:63]
	s_mov_b32 s36, 0x6c9a05f6
	s_mov_b32 s37, 0xbfe9895b
	v_add_f64 v[110:111], v[60:61], v[72:73]
	v_add_f64 v[118:119], v[72:73], -v[60:61]
	s_mov_b32 s34, 0x6ed5f1bb
	s_mov_b32 s35, 0xbfe348c8
	;; [unrolled: 4-line block ×3, first 2 shown]
	s_mov_b32 s47, 0xbfe0d888
	s_mov_b32 s46, s40
	v_add_f64 v[108:109], v[64:65], v[84:85]
	v_add_f64 v[116:117], v[64:65], -v[84:85]
	s_mov_b32 s38, 0x910ea3b9
	s_mov_b32 s39, 0xbfeb34fa
	v_add_f64 v[124:125], v[66:67], v[86:87]
	v_add_f64 v[132:133], v[78:79], -v[82:83]
	v_add_f64 v[2:3], v[22:23], v[2:3]
	s_mov_b32 s30, 0xacd6c6b4
	s_mov_b32 s31, 0xbfc7851a
	v_add_f64 v[126:127], v[76:77], v[80:81]
	v_add_f64 v[128:129], v[76:77], -v[80:81]
	s_mov_b32 s28, 0x7faef3
	s_mov_b32 s29, 0xbfef7484
	v_mul_f64 v[215:216], v[118:119], s[36:37]
	v_add_f64 v[134:135], v[78:79], v[82:83]
	v_mul_f64 v[190:191], v[146:147], s[6:7]
	v_mul_f64 v[223:224], v[92:93], s[20:21]
	v_mul_f64 v[213:214], v[120:121], s[46:47]
	v_mul_f64 v[192:193], v[207:208], s[6:7]
	v_mul_f64 v[231:232], v[90:91], s[20:21]
	v_mul_f64 v[225:226], v[98:99], s[36:37]
	v_mul_f64 v[237:238], v[96:97], s[36:37]
	v_mul_f64 v[229:230], v[122:123], s[30:31]
	v_mul_f64 v[217:218], v[116:117], s[46:47]
	v_mul_f64 v[245:246], v[102:103], s[30:31]
	v_mul_f64 v[235:236], v[138:139], s[40:41]
	v_mul_f64 v[247:248], v[112:113], s[40:41]
	v_mul_f64 v[221:222], v[132:133], s[30:31]
	s_mov_b32 s43, 0x3feec746
	s_mov_b32 s42, s26
	;; [unrolled: 1-line block ×3, first 2 shown]
	v_mul_f64 v[239:240], v[114:115], s[42:43]
	v_mul_f64 v[227:228], v[128:129], s[30:31]
	;; [unrolled: 1-line block ×3, first 2 shown]
	s_mov_b32 s44, s10
	s_mov_b32 s51, 0x3fd71e95
	v_mul_f64 v[241:242], v[120:121], s[44:45]
	v_mul_f64 v[148:149], v[116:117], s[44:45]
	s_mov_b32 s50, s4
	v_mul_f64 v[194:195], v[146:147], s[10:11]
	v_mul_f64 v[243:244], v[132:133], s[50:51]
	;; [unrolled: 1-line block ×6, first 2 shown]
	s_mov_b32 s49, 0x3fc7851a
	s_mov_b32 s48, s30
	v_mul_f64 v[152:153], v[122:123], s[42:43]
	v_mul_f64 v[251:252], v[98:99], s[48:49]
	;; [unrolled: 1-line block ×4, first 2 shown]
	s_mov_b32 s53, 0x3fe58eea
	s_mov_b32 s52, s6
	v_mul_f64 v[166:167], v[114:115], s[4:5]
	v_mul_f64 v[164:165], v[138:139], s[52:53]
	;; [unrolled: 1-line block ×18, first 2 shown]
	s_mov_b32 s57, 0x3fe9895b
	s_mov_b32 s56, s36
	v_mul_f64 v[18:19], v[92:93], s[40:41]
	v_mul_f64 v[211:212], v[90:91], s[40:41]
	;; [unrolled: 1-line block ×4, first 2 shown]
	s_mov_b32 s55, 0x3fefdd0d
	s_mov_b32 s54, s20
	v_fma_f64 v[16:17], v[104:105], s[28:29], -v[172:173]
	v_fma_f64 v[0:1], v[144:145], s[8:9], v[0:1]
	v_fma_f64 v[4:5], v[88:89], s[16:17], v[4:5]
	v_fma_f64 v[6:7], v[104:105], s[16:17], -v[6:7]
	v_fma_f64 v[8:9], v[94:95], s[18:19], v[8:9]
	v_add_f64 v[0:1], v[20:21], v[0:1]
	v_add_f64 v[2:3], v[6:7], v[2:3]
	v_fma_f64 v[6:7], v[100:101], s[22:23], v[10:11]
	v_fma_f64 v[10:11], v[88:89], s[34:35], v[233:234]
	v_add_f64 v[0:1], v[4:5], v[0:1]
	v_fma_f64 v[4:5], v[130:131], s[18:19], -v[12:13]
	v_fma_f64 v[12:13], v[104:105], s[34:35], -v[154:155]
	v_add_f64 v[0:1], v[8:9], v[0:1]
	v_add_f64 v[2:3], v[4:5], v[2:3]
	v_fma_f64 v[4:5], v[136:137], s[22:23], -v[14:15]
	v_fma_f64 v[8:9], v[104:105], s[22:23], -v[231:232]
	v_fma_f64 v[14:15], v[88:89], s[28:29], v[249:250]
	v_add_f64 v[0:1], v[6:7], v[0:1]
	v_fma_f64 v[6:7], v[88:89], s[22:23], v[223:224]
	v_add_f64 v[2:3], v[4:5], v[2:3]
	v_mul_f64 v[4:5], v[138:139], s[26:27]
	buffer_store_dword v4, off, s[60:63], 0 offset:232 ; 4-byte Folded Spill
	buffer_store_dword v5, off, s[60:63], 0 offset:236 ; 4-byte Folded Spill
	v_fma_f64 v[4:5], v[106:107], s[24:25], v[4:5]
	v_add_f64 v[0:1], v[4:5], v[0:1]
	v_mul_f64 v[4:5], v[112:113], s[26:27]
	buffer_store_dword v4, off, s[60:63], 0 offset:240 ; 4-byte Folded Spill
	buffer_store_dword v5, off, s[60:63], 0 offset:244 ; 4-byte Folded Spill
	v_fma_f64 v[4:5], v[140:141], s[24:25], -v[4:5]
	v_add_f64 v[2:3], v[4:5], v[2:3]
	v_mul_f64 v[4:5], v[114:115], s[36:37]
	buffer_store_dword v4, off, s[60:63], 0 offset:248 ; 4-byte Folded Spill
	buffer_store_dword v5, off, s[60:63], 0 offset:252 ; 4-byte Folded Spill
	v_fma_f64 v[4:5], v[110:111], s[34:35], v[4:5]
	v_add_f64 v[0:1], v[4:5], v[0:1]
	v_fma_f64 v[4:5], v[142:143], s[34:35], -v[215:216]
	v_add_f64 v[2:3], v[4:5], v[2:3]
	v_fma_f64 v[4:5], v[108:109], s[38:39], v[213:214]
	v_add_f64 v[0:1], v[4:5], v[0:1]
	v_fma_f64 v[4:5], v[124:125], s[38:39], -v[217:218]
	v_add_f64 v[2:3], v[4:5], v[2:3]
	v_fma_f64 v[4:5], v[126:127], s[28:29], v[221:222]
	v_add_f64 v[0:1], v[4:5], v[0:1]
	v_fma_f64 v[4:5], v[134:135], s[28:29], -v[227:228]
	v_add_f64 v[2:3], v[4:5], v[2:3]
	v_fma_f64 v[4:5], v[144:145], s[16:17], v[190:191]
	v_add_f64 v[4:5], v[20:21], v[4:5]
	v_add_f64 v[4:5], v[6:7], v[4:5]
	v_fma_f64 v[6:7], v[203:204], s[16:17], -v[192:193]
	v_add_f64 v[6:7], v[22:23], v[6:7]
	v_add_f64 v[6:7], v[8:9], v[6:7]
	v_fma_f64 v[8:9], v[94:95], s[34:35], v[225:226]
	v_add_f64 v[4:5], v[8:9], v[4:5]
	v_fma_f64 v[8:9], v[130:131], s[34:35], -v[237:238]
	v_add_f64 v[6:7], v[8:9], v[6:7]
	v_fma_f64 v[8:9], v[100:101], s[28:29], v[229:230]
	v_add_f64 v[4:5], v[8:9], v[4:5]
	v_fma_f64 v[8:9], v[136:137], s[28:29], -v[245:246]
	v_add_f64 v[6:7], v[8:9], v[6:7]
	v_fma_f64 v[8:9], v[106:107], s[38:39], v[235:236]
	v_add_f64 v[4:5], v[8:9], v[4:5]
	v_fma_f64 v[8:9], v[140:141], s[38:39], -v[247:248]
	v_add_f64 v[6:7], v[8:9], v[6:7]
	v_fma_f64 v[8:9], v[110:111], s[24:25], v[239:240]
	v_add_f64 v[4:5], v[8:9], v[4:5]
	v_fma_f64 v[8:9], v[142:143], s[24:25], -v[253:254]
	v_add_f64 v[6:7], v[8:9], v[6:7]
	v_fma_f64 v[8:9], v[108:109], s[18:19], v[241:242]
	v_add_f64 v[4:5], v[8:9], v[4:5]
	v_fma_f64 v[8:9], v[124:125], s[18:19], -v[148:149]
	v_add_f64 v[6:7], v[8:9], v[6:7]
	v_fma_f64 v[8:9], v[126:127], s[8:9], v[243:244]
	v_add_f64 v[4:5], v[8:9], v[4:5]
	v_fma_f64 v[8:9], v[134:135], s[8:9], -v[150:151]
	v_add_f64 v[6:7], v[8:9], v[6:7]
	v_fma_f64 v[8:9], v[144:145], s[18:19], v[194:195]
	v_add_f64 v[8:9], v[20:21], v[8:9]
	v_add_f64 v[8:9], v[10:11], v[8:9]
	v_fma_f64 v[10:11], v[203:204], s[18:19], -v[196:197]
	v_add_f64 v[10:11], v[22:23], v[10:11]
	v_add_f64 v[10:11], v[12:13], v[10:11]
	v_fma_f64 v[12:13], v[94:95], s[28:29], v[251:252]
	v_add_f64 v[8:9], v[12:13], v[8:9]
	v_fma_f64 v[12:13], v[130:131], s[28:29], -v[168:169]
	v_add_f64 v[10:11], v[12:13], v[10:11]
	v_fma_f64 v[12:13], v[100:101], s[24:25], v[152:153]
	v_add_f64 v[8:9], v[12:13], v[8:9]
	v_fma_f64 v[12:13], v[136:137], s[24:25], -v[176:177]
	v_add_f64 v[10:11], v[12:13], v[10:11]
	v_fma_f64 v[12:13], v[106:107], s[16:17], v[164:165]
	v_add_f64 v[8:9], v[12:13], v[8:9]
	v_fma_f64 v[12:13], v[140:141], s[16:17], -v[184:185]
	v_add_f64 v[10:11], v[12:13], v[10:11]
	;; [unrolled: 30-line block ×3, first 2 shown]
	v_mul_f64 v[16:17], v[114:115], s[46:47]
	buffer_store_dword v16, off, s[60:63], 0 offset:56 ; 4-byte Folded Spill
	buffer_store_dword v17, off, s[60:63], 0 offset:60 ; 4-byte Folded Spill
	v_fma_f64 v[16:17], v[110:111], s[38:39], v[16:17]
	v_add_f64 v[12:13], v[16:17], v[12:13]
	v_mul_f64 v[16:17], v[118:119], s[46:47]
	buffer_store_dword v16, off, s[60:63], 0 offset:96 ; 4-byte Folded Spill
	buffer_store_dword v17, off, s[60:63], 0 offset:100 ; 4-byte Folded Spill
	v_fma_f64 v[16:17], v[142:143], s[38:39], -v[16:17]
	v_add_f64 v[14:15], v[16:17], v[14:15]
	v_mul_f64 v[16:17], v[120:121], s[56:57]
	buffer_store_dword v16, off, s[60:63], 0 offset:64 ; 4-byte Folded Spill
	buffer_store_dword v17, off, s[60:63], 0 offset:68 ; 4-byte Folded Spill
	v_fma_f64 v[16:17], v[108:109], s[34:35], v[16:17]
	v_add_f64 v[12:13], v[16:17], v[12:13]
	v_mul_f64 v[16:17], v[116:117], s[56:57]
	buffer_store_dword v16, off, s[60:63], 0 offset:104 ; 4-byte Folded Spill
	buffer_store_dword v17, off, s[60:63], 0 offset:108 ; 4-byte Folded Spill
	v_fma_f64 v[16:17], v[124:125], s[34:35], -v[16:17]
	v_add_f64 v[14:15], v[16:17], v[14:15]
	v_mul_f64 v[16:17], v[132:133], s[52:53]
	buffer_store_dword v16, off, s[60:63], 0 offset:72 ; 4-byte Folded Spill
	buffer_store_dword v17, off, s[60:63], 0 offset:76 ; 4-byte Folded Spill
	v_fma_f64 v[16:17], v[126:127], s[16:17], v[16:17]
	v_add_f64 v[12:13], v[16:17], v[12:13]
	v_mul_f64 v[16:17], v[128:129], s[52:53]
	buffer_store_dword v16, off, s[60:63], 0 offset:112 ; 4-byte Folded Spill
	buffer_store_dword v17, off, s[60:63], 0 offset:116 ; 4-byte Folded Spill
	;; [unrolled: 1-line block ×6, first 2 shown]
	v_fma_f64 v[16:17], v[134:135], s[16:17], -v[16:17]
	v_fma_f64 v[18:19], v[88:89], s[38:39], v[18:19]
	v_fma_f64 v[211:212], v[104:105], s[38:39], -v[211:212]
	v_add_f64 v[14:15], v[16:17], v[14:15]
	v_fma_f64 v[16:17], v[144:145], s[24:25], v[205:206]
	v_add_f64 v[16:17], v[20:21], v[16:17]
	v_add_f64 v[16:17], v[18:19], v[16:17]
	v_fma_f64 v[18:19], v[203:204], s[24:25], -v[209:210]
	v_add_f64 v[18:19], v[22:23], v[18:19]
	v_add_f64 v[18:19], v[211:212], v[18:19]
	v_mul_f64 v[211:212], v[98:99], s[52:53]
	buffer_store_dword v211, off, s[60:63], 0 offset:48 ; 4-byte Folded Spill
	buffer_store_dword v212, off, s[60:63], 0 offset:52 ; 4-byte Folded Spill
	v_fma_f64 v[211:212], v[94:95], s[16:17], v[211:212]
	v_add_f64 v[16:17], v[211:212], v[16:17]
	v_mul_f64 v[211:212], v[96:97], s[52:53]
	buffer_store_dword v211, off, s[60:63], 0 offset:152 ; 4-byte Folded Spill
	buffer_store_dword v212, off, s[60:63], 0 offset:156 ; 4-byte Folded Spill
	v_fma_f64 v[211:212], v[130:131], s[16:17], -v[211:212]
	v_add_f64 v[18:19], v[211:212], v[18:19]
	v_mul_f64 v[211:212], v[122:123], s[10:11]
	buffer_store_dword v211, off, s[60:63], 0 offset:80 ; 4-byte Folded Spill
	buffer_store_dword v212, off, s[60:63], 0 offset:84 ; 4-byte Folded Spill
	v_fma_f64 v[211:212], v[100:101], s[18:19], v[211:212]
	v_add_f64 v[16:17], v[211:212], v[16:17]
	v_mul_f64 v[211:212], v[102:103], s[10:11]
	buffer_store_dword v211, off, s[60:63], 0 offset:176 ; 4-byte Folded Spill
	buffer_store_dword v212, off, s[60:63], 0 offset:180 ; 4-byte Folded Spill
	v_fma_f64 v[211:212], v[136:137], s[18:19], -v[211:212]
	;; [unrolled: 10-line block ×5, first 2 shown]
	v_add_f64 v[18:19], v[211:212], v[18:19]
	v_mul_f64 v[211:212], v[132:133], s[36:37]
	buffer_store_dword v211, off, s[60:63], 0 offset:136 ; 4-byte Folded Spill
	buffer_store_dword v212, off, s[60:63], 0 offset:140 ; 4-byte Folded Spill
	v_fma_f64 v[211:212], v[126:127], s[34:35], v[211:212]
	v_add_f64 v[16:17], v[211:212], v[16:17]
	v_mul_f64 v[211:212], v[128:129], s[36:37]
	buffer_store_dword v211, off, s[60:63], 0 offset:168 ; 4-byte Folded Spill
	buffer_store_dword v212, off, s[60:63], 0 offset:172 ; 4-byte Folded Spill
	s_waitcnt_vscnt null, 0x0
	s_barrier
	buffer_gl0_inv
	v_fma_f64 v[211:212], v[134:135], s[34:35], -v[211:212]
	v_add_f64 v[18:19], v[211:212], v[18:19]
	s_and_saveexec_b32 s33, vcc_lo
	s_cbranch_execz .LBB0_7
; %bb.6:
	v_add_f64 v[52:53], v[20:21], v[52:53]
	v_add_f64 v[54:55], v[22:23], v[54:55]
	v_mul_f64 v[211:212], v[142:143], s[24:25]
	v_add_f64 v[52:53], v[56:57], v[52:53]
	v_add_f64 v[54:55], v[58:59], v[54:55]
	;; [unrolled: 1-line block ×9, first 2 shown]
	v_mul_f64 v[70:71], v[144:145], s[8:9]
	v_add_f64 v[44:45], v[72:73], v[44:45]
	v_add_f64 v[46:47], v[74:75], v[46:47]
	s_clause 0x1
	buffer_load_dword v72, off, s[60:63], 0 offset:208
	buffer_load_dword v73, off, s[60:63], 0 offset:212
	v_add_f64 v[44:45], v[64:65], v[44:45]
	v_add_f64 v[46:47], v[66:67], v[46:47]
	;; [unrolled: 1-line block ×8, first 2 shown]
	v_mul_f64 v[86:87], v[110:111], s[34:35]
	v_add_f64 v[44:45], v[60:61], v[44:45]
	v_add_f64 v[46:47], v[62:63], v[46:47]
	v_mul_f64 v[62:63], v[146:147], s[36:37]
	v_mul_f64 v[60:61], v[146:147], s[46:47]
	v_add_f64 v[40:41], v[40:41], v[44:45]
	v_add_f64 v[42:43], v[42:43], v[46:47]
	v_fma_f64 v[68:69], v[144:145], s[34:35], v[62:63]
	v_fma_f64 v[62:63], v[144:145], s[34:35], -v[62:63]
	v_fma_f64 v[66:67], v[144:145], s[38:39], v[60:61]
	v_fma_f64 v[60:61], v[144:145], s[38:39], -v[60:61]
	v_add_f64 v[36:37], v[36:37], v[40:41]
	v_add_f64 v[38:39], v[38:39], v[42:43]
	;; [unrolled: 1-line block ×6, first 2 shown]
	v_mul_f64 v[32:33], v[203:204], s[38:39]
	v_add_f64 v[30:31], v[30:31], v[34:35]
	v_add_f64 v[24:25], v[24:25], v[28:29]
	v_fma_f64 v[34:35], v[207:208], s[40:41], v[32:33]
	v_fma_f64 v[36:37], v[207:208], s[46:47], v[32:33]
	v_mul_f64 v[32:33], v[203:204], s[34:35]
	v_mul_f64 v[28:29], v[203:204], s[28:29]
	v_add_f64 v[26:27], v[26:27], v[30:31]
	v_add_f64 v[34:35], v[22:23], v[34:35]
	;; [unrolled: 1-line block ×3, first 2 shown]
	v_fma_f64 v[38:39], v[207:208], s[56:57], v[32:33]
	v_fma_f64 v[40:41], v[207:208], s[36:37], v[32:33]
	v_mul_f64 v[32:33], v[203:204], s[24:25]
	v_fma_f64 v[30:31], v[207:208], s[48:49], v[28:29]
	v_fma_f64 v[28:29], v[207:208], s[30:31], v[28:29]
	v_mul_f64 v[207:208], v[140:141], s[38:39]
	v_add_f64 v[42:43], v[209:210], v[32:33]
	v_mul_f64 v[32:33], v[144:145], s[24:25]
	v_add_f64 v[74:75], v[22:23], v[28:29]
	v_add_f64 v[28:29], v[20:21], v[68:69]
	;; [unrolled: 1-line block ×3, first 2 shown]
	v_mul_f64 v[209:210], v[106:107], s[38:39]
	v_add_f64 v[42:43], v[22:23], v[42:43]
	v_add_f64 v[44:45], v[32:33], -v[205:206]
	v_mul_f64 v[32:33], v[203:204], s[22:23]
	v_mul_f64 v[205:206], v[100:101], s[28:29]
	v_add_f64 v[209:210], v[209:210], -v[235:236]
	v_add_f64 v[44:45], v[20:21], v[44:45]
	v_add_f64 v[46:47], v[200:201], v[32:33]
	v_mul_f64 v[32:33], v[144:145], s[22:23]
	v_mul_f64 v[200:201], v[94:95], s[34:35]
	v_add_f64 v[205:206], v[205:206], -v[229:230]
	s_waitcnt vmcnt(0)
	v_add_f64 v[70:71], v[70:71], -v[72:73]
	v_add_f64 v[72:73], v[22:23], v[30:31]
	v_add_f64 v[30:31], v[22:23], v[38:39]
	;; [unrolled: 1-line block ×4, first 2 shown]
	s_clause 0x1
	buffer_load_dword v62, off, s[60:63], 0 offset:28
	buffer_load_dword v63, off, s[60:63], 0 offset:32
	v_add_f64 v[46:47], v[22:23], v[46:47]
	v_add_f64 v[48:49], v[32:33], -v[198:199]
	v_mul_f64 v[32:33], v[203:204], s[18:19]
	v_add_f64 v[200:201], v[200:201], -v[225:226]
	v_mul_f64 v[225:226], v[94:95], s[24:25]
	v_mul_f64 v[198:199], v[130:131], s[34:35]
	v_add_f64 v[48:49], v[20:21], v[48:49]
	v_add_f64 v[50:51], v[196:197], v[32:33]
	v_mul_f64 v[32:33], v[144:145], s[18:19]
	v_add_f64 v[158:159], v[225:226], -v[158:159]
	v_mul_f64 v[225:226], v[100:101], s[8:9]
	v_mul_f64 v[196:197], v[88:89], s[22:23]
	v_add_f64 v[198:199], v[237:238], v[198:199]
	v_add_f64 v[50:51], v[22:23], v[50:51]
	v_add_f64 v[52:53], v[32:33], -v[194:195]
	v_mul_f64 v[32:33], v[203:204], s[16:17]
	v_add_f64 v[162:163], v[225:226], -v[162:163]
	v_mul_f64 v[225:226], v[106:107], s[18:19]
	;; [unrolled: 2-line block ×3, first 2 shown]
	v_mul_f64 v[194:195], v[104:105], s[22:23]
	v_add_f64 v[52:53], v[20:21], v[52:53]
	v_add_f64 v[54:55], v[192:193], v[32:33]
	v_mul_f64 v[32:33], v[144:145], s[16:17]
	v_add_f64 v[170:171], v[225:226], -v[170:171]
	v_mul_f64 v[225:226], v[104:105], s[8:9]
	v_mul_f64 v[192:193], v[126:127], s[28:29]
	v_add_f64 v[152:153], v[223:224], -v[152:153]
	v_add_f64 v[194:195], v[231:232], v[194:195]
	v_mul_f64 v[223:224], v[106:107], s[16:17]
	v_add_f64 v[54:55], v[22:23], v[54:55]
	v_add_f64 v[56:57], v[32:33], -v[190:191]
	v_mul_f64 v[32:33], v[203:204], s[8:9]
	v_mul_f64 v[190:191], v[134:135], s[28:29]
	v_add_f64 v[192:193], v[192:193], -v[221:222]
	v_mul_f64 v[221:222], v[140:141], s[16:17]
	v_mul_f64 v[203:204], v[136:137], s[28:29]
	v_add_f64 v[164:165], v[223:224], -v[164:165]
	v_mul_f64 v[223:224], v[142:143], s[8:9]
	v_add_f64 v[54:55], v[194:195], v[54:55]
	v_add_f64 v[56:57], v[20:21], v[56:57]
	;; [unrolled: 1-line block ×3, first 2 shown]
	v_mul_f64 v[32:33], v[146:147], s[30:31]
	v_add_f64 v[190:191], v[227:228], v[190:191]
	v_fma_f64 v[227:228], v[90:91], s[4:5], v[225:226]
	v_fma_f64 v[225:226], v[90:91], s[50:51], v[225:226]
	v_mul_f64 v[219:220], v[104:105], s[34:35]
	v_add_f64 v[184:185], v[184:185], v[221:222]
	v_mul_f64 v[221:222], v[94:95], s[28:29]
	v_add_f64 v[203:204], v[245:246], v[203:204]
	v_add_f64 v[180:181], v[180:181], v[223:224]
	v_mul_f64 v[223:224], v[110:111], s[8:9]
	v_mul_f64 v[146:147], v[108:109], s[38:39]
	v_add_f64 v[54:55], v[198:199], v[54:55]
	v_add_f64 v[56:57], v[196:197], v[56:57]
	;; [unrolled: 1-line block ×3, first 2 shown]
	v_fma_f64 v[64:65], v[144:145], s[28:29], v[32:33]
	v_fma_f64 v[32:33], v[144:145], s[28:29], -v[32:33]
	v_mul_f64 v[58:59], v[104:105], s[16:17]
	v_add_f64 v[72:73], v[227:228], v[72:73]
	v_mul_f64 v[227:228], v[92:93], s[50:51]
	v_add_f64 v[74:75], v[225:226], v[74:75]
	v_add_f64 v[154:155], v[154:155], v[219:220]
	v_mul_f64 v[219:220], v[130:131], s[28:29]
	v_add_f64 v[221:222], v[221:222], -v[251:252]
	v_add_f64 v[166:167], v[223:224], -v[166:167]
	v_mul_f64 v[223:224], v[124:125], s[22:23]
	v_add_f64 v[146:147], v[146:147], -v[213:214]
	v_mul_f64 v[213:214], v[110:111], s[24:25]
	v_add_f64 v[54:55], v[203:204], v[54:55]
	v_add_f64 v[56:57], v[200:201], v[56:57]
	;; [unrolled: 1-line block ×5, first 2 shown]
	s_clause 0x3
	buffer_load_dword v66, off, s[60:63], 0 offset:12
	buffer_load_dword v67, off, s[60:63], 0 offset:16
	;; [unrolled: 1-line block ×4, first 2 shown]
	v_add_f64 v[20:21], v[20:21], v[70:71]
	s_clause 0xb
	buffer_load_dword v70, off, s[60:63], 0 offset:20
	buffer_load_dword v71, off, s[60:63], 0 offset:24
	buffer_load_dword v78, off, s[60:63], 0 offset:224
	buffer_load_dword v79, off, s[60:63], 0 offset:228
	buffer_load_dword v80, off, s[60:63], 0 offset:192
	buffer_load_dword v81, off, s[60:63], 0 offset:196
	buffer_load_dword v82, off, s[60:63], 0 offset:240
	buffer_load_dword v83, off, s[60:63], 0 offset:244
	buffer_load_dword v84, off, s[60:63], 0 offset:232
	buffer_load_dword v85, off, s[60:63], 0 offset:236
	buffer_load_dword v144, off, s[60:63], 0 offset:248
	buffer_load_dword v145, off, s[60:63], 0 offset:252
	v_fma_f64 v[225:226], v[88:89], s[8:9], -v[227:228]
	v_fma_f64 v[229:230], v[88:89], s[8:9], v[227:228]
	v_add_f64 v[50:51], v[154:155], v[50:51]
	v_add_f64 v[168:169], v[168:169], v[219:220]
	v_mul_f64 v[219:220], v[136:137], s[24:25]
	v_add_f64 v[178:179], v[178:179], v[223:224]
	v_mul_f64 v[223:224], v[108:109], s[22:23]
	v_add_f64 v[54:55], v[207:208], v[54:55]
	v_add_f64 v[56:57], v[205:206], v[56:57]
	v_add_f64 v[213:214], v[213:214], -v[239:240]
	v_add_f64 v[76:77], v[225:226], v[76:77]
	v_mul_f64 v[225:226], v[104:105], s[18:19]
	v_add_f64 v[64:65], v[229:230], v[64:65]
	v_add_f64 v[50:51], v[168:169], v[50:51]
	;; [unrolled: 1-line block ×3, first 2 shown]
	v_mul_f64 v[219:220], v[88:89], s[34:35]
	v_add_f64 v[160:161], v[223:224], -v[160:161]
	v_add_f64 v[54:55], v[211:212], v[54:55]
	v_mul_f64 v[223:224], v[134:135], s[38:39]
	v_add_f64 v[56:57], v[209:210], v[56:57]
	v_fma_f64 v[227:228], v[90:91], s[44:45], v[225:226]
	v_add_f64 v[50:51], v[176:177], v[50:51]
	v_add_f64 v[219:220], v[219:220], -v[233:234]
	v_add_f64 v[174:175], v[174:175], v[223:224]
	v_mul_f64 v[223:224], v[126:127], s[38:39]
	v_add_f64 v[56:57], v[213:214], v[56:57]
	v_add_f64 v[36:37], v[227:228], v[36:37]
	v_mul_f64 v[227:228], v[92:93], s[44:45]
	v_mul_f64 v[92:93], v[92:93], s[42:43]
	v_add_f64 v[50:51], v[184:185], v[50:51]
	v_add_f64 v[52:53], v[219:220], v[52:53]
	v_add_f64 v[156:157], v[223:224], -v[156:157]
	v_mul_f64 v[223:224], v[140:141], s[18:19]
	v_fma_f64 v[229:230], v[88:89], s[18:19], -v[227:228]
	v_add_f64 v[50:51], v[180:181], v[50:51]
	v_add_f64 v[52:53], v[221:222], v[52:53]
	;; [unrolled: 1-line block ×3, first 2 shown]
	v_mul_f64 v[223:224], v[104:105], s[28:29]
	v_add_f64 v[60:61], v[229:230], v[60:61]
	v_add_f64 v[50:51], v[178:179], v[50:51]
	;; [unrolled: 1-line block ×4, first 2 shown]
	v_mul_f64 v[223:224], v[130:131], s[24:25]
	v_add_f64 v[52:53], v[164:165], v[52:53]
	s_waitcnt vmcnt(16)
	v_add_f64 v[58:59], v[62:63], v[58:59]
	v_mul_f64 v[62:63], v[88:89], s[16:17]
	v_add_f64 v[46:47], v[172:173], v[46:47]
	v_add_f64 v[182:183], v[182:183], v[223:224]
	v_mul_f64 v[223:224], v[136:137], s[8:9]
	v_add_f64 v[52:53], v[166:167], v[52:53]
	;; [unrolled: 3-line block ×4, first 2 shown]
	v_add_f64 v[46:47], v[186:187], v[46:47]
	v_add_f64 v[223:224], v[223:224], -v[249:250]
	v_add_f64 v[48:49], v[223:224], v[48:49]
	v_add_f64 v[48:49], v[158:159], v[48:49]
	;; [unrolled: 1-line block ×4, first 2 shown]
	s_waitcnt vmcnt(14)
	v_add_f64 v[62:63], v[62:63], -v[66:67]
	v_mul_f64 v[66:67], v[130:131], s[18:19]
	s_waitcnt vmcnt(0)
	v_add_f64 v[86:87], v[86:87], -v[144:145]
	v_mul_f64 v[144:145], v[124:125], s[38:39]
	v_add_f64 v[20:21], v[62:63], v[20:21]
	v_add_f64 v[66:67], v[68:69], v[66:67]
	v_mul_f64 v[68:69], v[94:95], s[18:19]
	v_fma_f64 v[62:63], v[96:97], s[40:41], v[58:59]
	v_fma_f64 v[58:59], v[96:97], s[46:47], v[58:59]
	v_add_f64 v[144:145], v[217:218], v[144:145]
	v_mul_f64 v[217:218], v[134:135], s[8:9]
	v_add_f64 v[22:23], v[66:67], v[22:23]
	v_add_f64 v[68:69], v[68:69], -v[70:71]
	v_mul_f64 v[70:71], v[136:137], s[22:23]
	v_add_f64 v[62:63], v[62:63], v[72:73]
	v_mul_f64 v[72:73], v[98:99], s[46:47]
	v_add_f64 v[58:59], v[58:59], v[74:75]
	v_mul_f64 v[74:75], v[130:131], s[22:23]
	v_mul_f64 v[66:67], v[136:137], s[16:17]
	v_add_f64 v[150:151], v[150:151], v[217:218]
	v_mul_f64 v[217:218], v[126:127], s[8:9]
	v_add_f64 v[20:21], v[68:69], v[20:21]
	v_add_f64 v[70:71], v[78:79], v[70:71]
	v_mul_f64 v[78:79], v[100:101], s[22:23]
	v_fma_f64 v[154:155], v[94:95], s[38:39], v[72:73]
	v_fma_f64 v[72:73], v[94:95], s[38:39], -v[72:73]
	v_fma_f64 v[68:69], v[102:103], s[6:7], v[66:67]
	v_fma_f64 v[66:67], v[102:103], s[52:53], v[66:67]
	v_add_f64 v[217:218], v[217:218], -v[243:244]
	v_add_f64 v[22:23], v[70:71], v[22:23]
	v_add_f64 v[78:79], v[78:79], -v[80:81]
	v_mul_f64 v[70:71], v[140:141], s[34:35]
	v_add_f64 v[72:73], v[72:73], v[76:77]
	v_fma_f64 v[76:77], v[96:97], s[20:21], v[74:75]
	v_mul_f64 v[80:81], v[140:141], s[24:25]
	v_add_f64 v[62:63], v[68:69], v[62:63]
	v_mul_f64 v[68:69], v[122:123], s[52:53]
	v_add_f64 v[64:65], v[154:155], v[64:65]
	v_add_f64 v[58:59], v[66:67], v[58:59]
	v_fma_f64 v[74:75], v[96:97], s[54:55], v[74:75]
	v_add_f64 v[20:21], v[78:79], v[20:21]
	v_fma_f64 v[78:79], v[112:113], s[56:57], v[70:71]
	v_fma_f64 v[70:71], v[112:113], s[36:37], v[70:71]
	v_add_f64 v[36:37], v[76:77], v[36:37]
	v_mul_f64 v[76:77], v[98:99], s[20:21]
	v_add_f64 v[80:81], v[82:83], v[80:81]
	v_mul_f64 v[82:83], v[106:107], s[24:25]
	v_fma_f64 v[66:67], v[100:101], s[16:17], -v[68:69]
	v_mul_f64 v[98:99], v[98:99], s[4:5]
	v_add_f64 v[62:63], v[78:79], v[62:63]
	v_mul_f64 v[78:79], v[138:139], s[36:37]
	v_add_f64 v[58:59], v[70:71], v[58:59]
	v_fma_f64 v[154:155], v[94:95], s[22:23], -v[76:77]
	v_add_f64 v[22:23], v[80:81], v[22:23]
	v_add_f64 v[82:83], v[82:83], -v[84:85]
	v_add_f64 v[66:67], v[66:67], v[72:73]
	v_mul_f64 v[80:81], v[142:143], s[18:19]
	v_mul_f64 v[84:85], v[142:143], s[34:35]
	v_fma_f64 v[70:71], v[106:107], s[34:35], -v[78:79]
	v_fma_f64 v[152:153], v[106:107], s[34:35], v[78:79]
	v_add_f64 v[60:61], v[154:155], v[60:61]
	v_fma_f64 v[154:155], v[100:101], s[16:17], v[68:69]
	v_mul_f64 v[68:69], v[136:137], s[34:35]
	v_add_f64 v[20:21], v[82:83], v[20:21]
	v_fma_f64 v[82:83], v[118:119], s[10:11], v[80:81]
	v_add_f64 v[84:85], v[215:216], v[84:85]
	v_fma_f64 v[80:81], v[118:119], s[44:45], v[80:81]
	v_mul_f64 v[215:216], v[124:125], s[18:19]
	v_add_f64 v[66:67], v[70:71], v[66:67]
	v_mul_f64 v[70:71], v[140:141], s[8:9]
	v_add_f64 v[64:65], v[154:155], v[64:65]
	v_fma_f64 v[72:73], v[102:103], s[56:57], v[68:69]
	v_add_f64 v[20:21], v[86:87], v[20:21]
	v_add_f64 v[62:63], v[82:83], v[62:63]
	v_mul_f64 v[82:83], v[114:115], s[44:45]
	v_add_f64 v[58:59], v[80:81], v[58:59]
	v_add_f64 v[22:23], v[84:85], v[22:23]
	v_mul_f64 v[84:85], v[124:125], s[24:25]
	v_add_f64 v[148:149], v[148:149], v[215:216]
	v_fma_f64 v[68:69], v[102:103], s[36:37], v[68:69]
	v_mul_f64 v[215:216], v[108:109], s[18:19]
	v_fma_f64 v[78:79], v[112:113], s[4:5], v[70:71]
	v_add_f64 v[64:65], v[152:153], v[64:65]
	v_add_f64 v[36:37], v[72:73], v[36:37]
	v_mul_f64 v[72:73], v[122:123], s[56:57]
	v_add_f64 v[146:147], v[146:147], v[20:21]
	v_fma_f64 v[80:81], v[110:111], s[18:19], -v[82:83]
	v_mul_f64 v[20:21], v[142:143], s[38:39]
	v_add_f64 v[144:145], v[144:145], v[22:23]
	v_fma_f64 v[86:87], v[116:117], s[42:43], v[84:85]
	v_fma_f64 v[84:85], v[116:117], s[26:27], v[84:85]
	s_clause 0x1
	buffer_load_dword v22, off, s[60:63], 0 offset:96
	buffer_load_dword v23, off, s[60:63], 0 offset:100
	v_add_f64 v[54:55], v[148:149], v[54:55]
	s_clause 0x1
	buffer_load_dword v148, off, s[60:63], 0 offset:56
	buffer_load_dword v149, off, s[60:63], 0 offset:60
	v_mul_f64 v[122:123], v[122:123], s[46:47]
	v_add_f64 v[215:216], v[215:216], -v[241:242]
	v_add_f64 v[36:37], v[78:79], v[36:37]
	v_fma_f64 v[154:155], v[100:101], s[34:35], -v[72:73]
	v_mul_f64 v[78:79], v[138:139], s[4:5]
	v_add_f64 v[66:67], v[80:81], v[66:67]
	v_mul_f64 v[80:81], v[142:143], s[28:29]
	v_add_f64 v[62:63], v[86:87], v[62:63]
	;; [unrolled: 2-line block ×3, first 2 shown]
	v_add_f64 v[56:57], v[215:216], v[56:57]
	v_add_f64 v[60:61], v[154:155], v[60:61]
	v_fma_f64 v[152:153], v[106:107], s[8:9], -v[78:79]
	v_fma_f64 v[84:85], v[108:109], s[24:25], -v[86:87]
	v_add_f64 v[60:61], v[152:153], v[60:61]
	v_fma_f64 v[152:153], v[110:111], s[18:19], v[82:83]
	v_fma_f64 v[82:83], v[118:119], s[30:31], v[80:81]
	v_add_f64 v[66:67], v[84:85], v[66:67]
	v_mul_f64 v[84:85], v[124:125], s[16:17]
	v_add_f64 v[64:65], v[152:153], v[64:65]
	v_add_f64 v[36:37], v[82:83], v[36:37]
	v_mul_f64 v[82:83], v[114:115], s[30:31]
	v_fma_f64 v[152:153], v[110:111], s[28:29], -v[82:83]
	v_add_f64 v[60:61], v[152:153], v[60:61]
	v_fma_f64 v[152:153], v[108:109], s[24:25], v[86:87]
	v_fma_f64 v[86:87], v[116:117], s[52:53], v[84:85]
	v_add_f64 v[64:65], v[152:153], v[64:65]
	v_add_f64 v[36:37], v[86:87], v[36:37]
	v_mul_f64 v[86:87], v[120:121], s[52:53]
	v_fma_f64 v[152:153], v[108:109], s[16:17], -v[86:87]
	v_fma_f64 v[86:87], v[108:109], s[16:17], v[86:87]
	v_add_f64 v[60:61], v[152:153], v[60:61]
	s_clause 0x1
	buffer_load_dword v152, off, s[60:63], 0 offset:104
	buffer_load_dword v153, off, s[60:63], 0 offset:108
	s_waitcnt vmcnt(4)
	v_add_f64 v[20:21], v[22:23], v[20:21]
	v_add_f64 v[22:23], v[188:189], v[46:47]
	v_mul_f64 v[46:47], v[110:111], s[38:39]
	v_add_f64 v[20:21], v[20:21], v[22:23]
	s_waitcnt vmcnt(2)
	v_add_f64 v[46:47], v[46:47], -v[148:149]
	v_mul_f64 v[148:149], v[124:125], s[34:35]
	v_mul_f64 v[22:23], v[108:109], s[34:35]
	v_add_f64 v[46:47], v[46:47], v[48:49]
	v_mul_f64 v[48:49], v[134:135], s[16:17]
	s_waitcnt vmcnt(0)
	v_add_f64 v[148:149], v[152:153], v[148:149]
	s_clause 0x1
	buffer_load_dword v152, off, s[60:63], 0 offset:64
	buffer_load_dword v153, off, s[60:63], 0 offset:68
	v_add_f64 v[148:149], v[148:149], v[20:21]
	v_mul_f64 v[20:21], v[126:127], s[16:17]
	s_waitcnt vmcnt(0)
	v_add_f64 v[22:23], v[22:23], -v[152:153]
	s_clause 0x1
	buffer_load_dword v152, off, s[60:63], 0 offset:112
	buffer_load_dword v153, off, s[60:63], 0 offset:116
	v_add_f64 v[154:155], v[22:23], v[46:47]
	s_waitcnt vmcnt(0)
	v_add_f64 v[48:49], v[152:153], v[48:49]
	s_clause 0x5
	buffer_load_dword v152, off, s[60:63], 0 offset:72
	buffer_load_dword v153, off, s[60:63], 0 offset:76
	buffer_load_dword v22, off, s[60:63], 0 offset:144
	buffer_load_dword v23, off, s[60:63], 0 offset:148
	buffer_load_dword v46, off, s[60:63], 0 offset:152
	buffer_load_dword v47, off, s[60:63], 0 offset:156
	s_waitcnt vmcnt(4)
	v_add_f64 v[152:153], v[20:21], -v[152:153]
	v_mul_f64 v[20:21], v[104:105], s[38:39]
	s_waitcnt vmcnt(2)
	v_add_f64 v[20:21], v[22:23], v[20:21]
	v_mul_f64 v[22:23], v[130:131], s[16:17]
	v_add_f64 v[20:21], v[20:21], v[42:43]
	s_waitcnt vmcnt(0)
	v_add_f64 v[22:23], v[46:47], v[22:23]
	s_clause 0x1
	buffer_load_dword v46, off, s[60:63], 0 offset:176
	buffer_load_dword v47, off, s[60:63], 0 offset:180
	v_mul_f64 v[42:43], v[136:137], s[18:19]
	v_add_f64 v[20:21], v[22:23], v[20:21]
	v_mul_f64 v[22:23], v[140:141], s[28:29]
	s_waitcnt vmcnt(0)
	v_add_f64 v[42:43], v[46:47], v[42:43]
	s_clause 0x1
	buffer_load_dword v46, off, s[60:63], 0 offset:184
	buffer_load_dword v47, off, s[60:63], 0 offset:188
	v_add_f64 v[20:21], v[42:43], v[20:21]
	v_mul_f64 v[42:43], v[142:143], s[22:23]
	s_waitcnt vmcnt(0)
	v_add_f64 v[22:23], v[46:47], v[22:23]
	s_clause 0x1
	buffer_load_dword v46, off, s[60:63], 0 offset:216
	buffer_load_dword v47, off, s[60:63], 0 offset:220
	;; [unrolled: 7-line block ×3, first 2 shown]
	buffer_load_dword v158, off, s[60:63], 0 offset:48
	buffer_load_dword v159, off, s[60:63], 0 offset:52
	v_add_f64 v[20:21], v[42:43], v[20:21]
	v_mul_f64 v[42:43], v[108:109], s[8:9]
	s_waitcnt vmcnt(2)
	v_add_f64 v[22:23], v[22:23], -v[46:47]
	v_mul_f64 v[46:47], v[94:95], s[16:17]
	v_add_f64 v[22:23], v[22:23], v[44:45]
	s_waitcnt vmcnt(0)
	v_add_f64 v[46:47], v[46:47], -v[158:159]
	s_clause 0x1
	buffer_load_dword v158, off, s[60:63], 0 offset:80
	buffer_load_dword v159, off, s[60:63], 0 offset:84
	v_mul_f64 v[44:45], v[100:101], s[18:19]
	v_add_f64 v[22:23], v[46:47], v[22:23]
	v_mul_f64 v[46:47], v[106:107], s[28:29]
	s_waitcnt vmcnt(0)
	v_add_f64 v[44:45], v[44:45], -v[158:159]
	s_clause 0x1
	buffer_load_dword v158, off, s[60:63], 0 offset:88
	buffer_load_dword v159, off, s[60:63], 0 offset:92
	v_add_f64 v[22:23], v[44:45], v[22:23]
	v_mul_f64 v[44:45], v[110:111], s[22:23]
	s_waitcnt vmcnt(0)
	v_add_f64 v[46:47], v[46:47], -v[158:159]
	s_clause 0x1
	buffer_load_dword v158, off, s[60:63], 0 offset:120
	buffer_load_dword v159, off, s[60:63], 0 offset:124
	;; [unrolled: 7-line block ×3, first 2 shown]
	v_add_f64 v[22:23], v[44:45], v[22:23]
	v_mul_f64 v[44:45], v[134:135], s[34:35]
	s_waitcnt vmcnt(0)
	v_add_f64 v[46:47], v[158:159], v[46:47]
	s_clause 0x1
	buffer_load_dword v158, off, s[60:63], 0 offset:128
	buffer_load_dword v159, off, s[60:63], 0 offset:132
	v_add_f64 v[160:161], v[46:47], v[20:21]
	v_mul_f64 v[20:21], v[126:127], s[34:35]
	s_waitcnt vmcnt(0)
	v_add_f64 v[42:43], v[42:43], -v[158:159]
	s_clause 0x1
	buffer_load_dword v158, off, s[60:63], 0 offset:168
	buffer_load_dword v159, off, s[60:63], 0 offset:172
	s_waitcnt vmcnt(0)
	v_add_f64 v[158:159], v[158:159], v[44:45]
	s_clause 0x1
	buffer_load_dword v44, off, s[60:63], 0 offset:136
	buffer_load_dword v45, off, s[60:63], 0 offset:140
	s_waitcnt vmcnt(0)
	v_add_f64 v[162:163], v[20:21], -v[44:45]
	v_mul_f64 v[20:21], v[104:105], s[24:25]
	v_fma_f64 v[44:45], v[90:91], s[42:43], v[20:21]
	v_fma_f64 v[20:21], v[90:91], s[26:27], v[20:21]
	v_add_f64 v[38:39], v[44:45], v[38:39]
	v_mul_f64 v[44:45], v[130:131], s[8:9]
	v_add_f64 v[20:21], v[20:21], v[30:31]
	v_fma_f64 v[30:31], v[100:101], s[34:35], v[72:73]
	v_mul_f64 v[72:73], v[124:125], s[28:29]
	v_fma_f64 v[46:47], v[96:97], s[4:5], v[44:45]
	v_fma_f64 v[44:45], v[96:97], s[50:51], v[44:45]
	v_add_f64 v[38:39], v[46:47], v[38:39]
	v_mul_f64 v[46:47], v[136:137], s[38:39]
	v_add_f64 v[20:21], v[44:45], v[20:21]
	v_fma_f64 v[44:45], v[112:113], s[50:51], v[70:71]
	v_fma_f64 v[70:71], v[110:111], s[28:29], v[82:83]
	v_mul_f64 v[82:83], v[134:135], s[18:19]
	v_fma_f64 v[104:105], v[102:103], s[46:47], v[46:47]
	v_fma_f64 v[46:47], v[102:103], s[40:41], v[46:47]
	v_add_f64 v[38:39], v[104:105], v[38:39]
	v_mul_f64 v[104:105], v[140:141], s[22:23]
	v_add_f64 v[20:21], v[46:47], v[20:21]
	v_fma_f64 v[46:47], v[106:107], s[8:9], v[78:79]
	v_fma_f64 v[78:79], v[116:117], s[6:7], v[84:85]
	v_mul_f64 v[84:85], v[132:133], s[44:45]
	v_fma_f64 v[130:131], v[112:113], s[54:55], v[104:105]
	v_add_f64 v[38:39], v[130:131], v[38:39]
	v_mul_f64 v[130:131], v[142:143], s[16:17]
	v_fma_f64 v[136:137], v[118:119], s[6:7], v[130:131]
	v_add_f64 v[38:39], v[136:137], v[38:39]
	v_fma_f64 v[136:137], v[88:89], s[24:25], -v[92:93]
	v_add_f64 v[40:41], v[136:137], v[40:41]
	v_fma_f64 v[136:137], v[94:95], s[8:9], -v[98:99]
	;; [unrolled: 2-line block ×3, first 2 shown]
	v_add_f64 v[40:41], v[136:137], v[40:41]
	v_mul_f64 v[136:137], v[138:139], s[54:55]
	v_fma_f64 v[138:139], v[106:107], s[22:23], -v[136:137]
	v_add_f64 v[40:41], v[138:139], v[40:41]
	v_fma_f64 v[138:139], v[90:91], s[10:11], v[225:226]
	v_add_f64 v[90:91], v[42:43], v[22:23]
	v_add_f64 v[34:35], v[138:139], v[34:35]
	v_fma_f64 v[138:139], v[88:89], s[18:19], v[227:228]
	v_add_f64 v[34:35], v[74:75], v[34:35]
	v_add_f64 v[32:33], v[138:139], v[32:33]
	v_fma_f64 v[74:75], v[94:95], s[22:23], v[76:77]
	v_mul_f64 v[76:77], v[120:121], s[30:31]
	v_add_f64 v[34:35], v[68:69], v[34:35]
	v_fma_f64 v[68:69], v[88:89], s[24:25], v[92:93]
	v_add_f64 v[32:33], v[74:75], v[32:33]
	v_mul_f64 v[74:75], v[134:135], s[22:23]
	v_fma_f64 v[92:93], v[126:127], s[18:19], -v[84:85]
	v_fma_f64 v[84:85], v[126:127], s[18:19], v[84:85]
	v_add_f64 v[34:35], v[44:45], v[34:35]
	v_add_f64 v[28:29], v[68:69], v[28:29]
	;; [unrolled: 1-line block ×3, first 2 shown]
	v_fma_f64 v[32:33], v[94:95], s[8:9], v[98:99]
	v_fma_f64 v[44:45], v[112:113], s[20:21], v[104:105]
	;; [unrolled: 1-line block ×3, first 2 shown]
	v_add_f64 v[30:31], v[46:47], v[30:31]
	v_add_f64 v[28:29], v[32:33], v[28:29]
	v_fma_f64 v[32:33], v[100:101], s[38:39], v[122:123]
	v_add_f64 v[20:21], v[44:45], v[20:21]
	v_mul_f64 v[44:45], v[114:115], s[6:7]
	v_fma_f64 v[46:47], v[118:119], s[48:49], v[80:81]
	v_fma_f64 v[80:81], v[128:129], s[20:21], v[74:75]
	v_fma_f64 v[74:75], v[128:129], s[54:55], v[74:75]
	v_add_f64 v[30:31], v[70:71], v[30:31]
	v_fma_f64 v[70:71], v[116:117], s[30:31], v[72:73]
	v_add_f64 v[28:29], v[32:33], v[28:29]
	v_fma_f64 v[32:33], v[106:107], s[22:23], v[136:137]
	v_add_f64 v[20:21], v[68:69], v[20:21]
	v_add_f64 v[34:35], v[46:47], v[34:35]
	v_mul_f64 v[46:47], v[134:135], s[24:25]
	v_mul_f64 v[68:69], v[132:133], s[26:27]
	v_fma_f64 v[72:73], v[116:117], s[48:49], v[72:73]
	v_add_f64 v[22:23], v[80:81], v[62:63]
	v_fma_f64 v[80:81], v[128:129], s[44:45], v[82:83]
	v_fma_f64 v[82:83], v[128:129], s[10:11], v[82:83]
	v_add_f64 v[86:87], v[86:87], v[30:31]
	v_add_f64 v[70:71], v[70:71], v[38:39]
	;; [unrolled: 1-line block ×4, first 2 shown]
	v_fma_f64 v[32:33], v[110:111], s[16:17], -v[44:45]
	v_fma_f64 v[44:45], v[110:111], s[16:17], v[44:45]
	v_fma_f64 v[42:43], v[128:129], s[26:27], v[46:47]
	v_fma_f64 v[38:39], v[126:127], s[24:25], -v[68:69]
	v_add_f64 v[78:79], v[78:79], v[34:35]
	v_fma_f64 v[94:95], v[128:129], s[42:43], v[46:47]
	v_fma_f64 v[68:69], v[126:127], s[24:25], v[68:69]
	v_add_f64 v[72:73], v[72:73], v[20:21]
	v_add_f64 v[46:47], v[174:175], v[50:51]
	;; [unrolled: 1-line block ×5, first 2 shown]
	v_mul_lo_u16 v70, v255, 17
	v_add_f64 v[32:33], v[32:33], v[40:41]
	v_mul_f64 v[40:41], v[132:133], s[54:55]
	v_add_f64 v[28:29], v[44:45], v[28:29]
	v_fma_f64 v[44:45], v[108:109], s[28:29], -v[76:77]
	v_fma_f64 v[76:77], v[108:109], s[28:29], v[76:77]
	v_add_f64 v[34:35], v[42:43], v[36:37]
	v_add_f64 v[36:37], v[192:193], v[146:147]
	;; [unrolled: 1-line block ×4, first 2 shown]
	v_fma_f64 v[88:89], v[126:127], s[22:23], v[40:41]
	v_fma_f64 v[40:41], v[126:127], s[22:23], -v[40:41]
	v_add_f64 v[62:63], v[44:45], v[32:33]
	v_add_f64 v[76:77], v[76:77], v[28:29]
	;; [unrolled: 1-line block ×7, first 2 shown]
	v_and_b32_e32 v68, 0xffff, v70
	v_add_lshl_u32 v68, v202, v68, 4
	v_add_f64 v[20:21], v[88:89], v[64:65]
	v_add_f64 v[28:29], v[40:41], v[66:67]
	;; [unrolled: 1-line block ×7, first 2 shown]
	ds_write_b128 v68, v[24:27]
	ds_write_b128 v68, v[36:39] offset:16
	ds_write_b128 v68, v[40:43] offset:32
	;; [unrolled: 1-line block ×16, first 2 shown]
.LBB0_7:
	s_or_b32 exec_lo, exec_lo, s33
	v_add_co_u32 v52, null, 0xcc, v255
	v_and_b32_e32 v20, 0xff, v255
	v_add_nc_u16 v53, v255, 0x66
	v_mov_b32_e32 v21, 0xf0f1
	v_add_co_u32 v23, null, 0x132, v255
	v_mul_lo_u16 v20, 0xf1, v20
	v_and_b32_e32 v87, 0xff, v53
	v_mul_u32_u24_sdwa v22, v52, v21 dst_sel:DWORD dst_unused:UNUSED_PAD src0_sel:WORD_0 src1_sel:DWORD
	v_mul_u32_u24_sdwa v21, v23, v21 dst_sel:DWORD dst_unused:UNUSED_PAD src0_sel:WORD_0 src1_sel:DWORD
	s_load_dwordx4 s[4:7], s[0:1], 0x0
	v_lshrrev_b16 v106, 12, v20
	v_mul_lo_u16 v20, 0xf1, v87
	v_lshrrev_b32_e32 v54, 20, v22
	v_lshrrev_b32_e32 v141, 20, v21
	s_waitcnt lgkmcnt(0)
	v_mul_lo_u16 v22, v106, 17
	v_lshrrev_b16 v140, 12, v20
	v_mul_lo_u16 v20, v54, 17
	s_barrier
	buffer_gl0_inv
	v_sub_nc_u16 v142, v255, v22
	v_mul_lo_u16 v21, v140, 17
	v_mov_b32_e32 v22, 5
	v_sub_nc_u16 v143, v52, v20
	v_mul_lo_u16 v20, v141, 17
	v_add_lshl_u32 v219, v202, v255, 4
	v_sub_nc_u16 v144, v53, v21
	v_lshlrev_b32_sdwa v21, v22, v142 dst_sel:DWORD dst_unused:UNUSED_PAD src0_sel:DWORD src1_sel:BYTE_0
	v_lshlrev_b16 v28, 1, v143
	v_sub_nc_u16 v145, v23, v20
	v_mov_b32_e32 v20, 4
	v_lshlrev_b32_sdwa v22, v22, v144 dst_sel:DWORD dst_unused:UNUSED_PAD src0_sel:DWORD src1_sel:BYTE_0
	s_clause 0x1
	global_load_dwordx4 v[36:39], v21, s[2:3]
	global_load_dwordx4 v[24:27], v21, s[2:3] offset:16
	v_mov_b32_e32 v146, 51
	v_lshlrev_b16 v21, 1, v145
	v_lshlrev_b32_sdwa v23, v20, v28 dst_sel:DWORD dst_unused:UNUSED_PAD src0_sel:DWORD src1_sel:WORD_0
	s_clause 0x1
	global_load_dwordx4 v[40:43], v22, s[2:3]
	global_load_dwordx4 v[28:31], v22, s[2:3] offset:16
	v_mov_b32_e32 v89, 0xa0a1
	v_mul_u32_u24_sdwa v147, v106, v146 dst_sel:DWORD dst_unused:UNUSED_PAD src0_sel:WORD_0 src1_sel:DWORD
	v_lshlrev_b32_sdwa v44, v20, v21 dst_sel:DWORD dst_unused:UNUSED_PAD src0_sel:DWORD src1_sel:WORD_0
	s_clause 0x3
	global_load_dwordx4 v[32:35], v23, s[2:3]
	global_load_dwordx4 v[20:23], v23, s[2:3] offset:16
	global_load_dwordx4 v[48:51], v44, s[2:3]
	global_load_dwordx4 v[44:47], v44, s[2:3] offset:16
	ds_read_b128 v[55:58], v219 offset:6528
	ds_read_b128 v[59:62], v219 offset:13056
	ds_read_b128 v[63:66], v219
	ds_read_b128 v[67:70], v219 offset:1632
	ds_read_b128 v[71:74], v219 offset:8160
	;; [unrolled: 1-line block ×9, first 2 shown]
	v_mul_u32_u24_sdwa v89, v52, v89 dst_sel:DWORD dst_unused:UNUSED_PAD src0_sel:WORD_0 src1_sel:DWORD
	v_mul_lo_u16 v87, 0xa1, v87
	v_mul_u32_u24_sdwa v140, v140, v146 dst_sel:DWORD dst_unused:UNUSED_PAD src0_sel:WORD_0 src1_sel:DWORD
	v_mad_u16 v54, v54, 51, v143
	s_mov_b32 s8, 0xe8584caa
	v_lshrrev_b32_e32 v89, 21, v89
	v_lshrrev_b16 v174, 13, v87
	v_add_nc_u32_sdwa v152, v140, v144 dst_sel:DWORD dst_unused:UNUSED_PAD src0_sel:DWORD src1_sel:BYTE_0
	s_mov_b32 s9, 0x3febb67a
	s_mov_b32 s11, 0xbfebb67a
	v_mul_lo_u16 v87, v89, 51
	s_mov_b32 s10, s8
	v_and_b32_e32 v153, 0xffff, v54
	v_subrev_nc_u32_e32 v88, 51, v255
	v_cmp_gt_u16_e64 s0, 51, v255
	v_sub_nc_u16 v175, v52, v87
	v_add_nc_u32_sdwa v87, v147, v142 dst_sel:DWORD dst_unused:UNUSED_PAD src0_sel:DWORD src1_sel:BYTE_0
	s_waitcnt vmcnt(0) lgkmcnt(0)
	s_barrier
	v_cndmask_b32_e64 v88, v88, v255, s0
	v_mul_lo_u16 v151, v175, 48
	v_add_lshl_u32 v221, v202, v87, 4
	buffer_gl0_inv
	v_mad_u16 v89, 0xcc, v89, v175
	v_mul_i32_i24_e32 v138, 48, v88
	v_mul_hi_i32_i24_e32 v139, 48, v88
	v_add_co_u32 v138, s0, s2, v138
	v_add_co_ci_u32_e64 v139, s0, s3, v139, s0
	v_mul_f64 v[106:107], v[57:58], v[38:39]
	v_mul_f64 v[108:109], v[55:56], v[38:39]
	;; [unrolled: 1-line block ×16, first 2 shown]
	v_fma_f64 v[55:56], v[55:56], v[36:37], -v[106:107]
	v_fma_f64 v[57:58], v[57:58], v[36:37], v[108:109]
	v_fma_f64 v[59:60], v[59:60], v[24:25], -v[110:111]
	v_fma_f64 v[61:62], v[61:62], v[24:25], v[112:113]
	;; [unrolled: 2-line block ×8, first 2 shown]
	v_mul_lo_u16 v106, v174, 51
	v_mad_u16 v112, v141, 51, v145
	v_sub_nc_u16 v150, v53, v106
	v_and_b32_e32 v154, 0xffff, v112
	v_add_f64 v[114:115], v[63:64], v[55:56]
	v_add_f64 v[52:53], v[55:56], v[59:60]
	;; [unrolled: 1-line block ×3, first 2 shown]
	v_add_f64 v[118:119], v[57:58], -v[61:62]
	v_add_f64 v[57:58], v[65:66], v[57:58]
	v_add_f64 v[108:109], v[71:72], v[75:76]
	;; [unrolled: 1-line block ×3, first 2 shown]
	v_add_f64 v[124:125], v[55:56], -v[59:60]
	v_add_f64 v[126:127], v[67:68], v[71:72]
	v_add_f64 v[112:113], v[79:80], v[83:84]
	;; [unrolled: 1-line block ×4, first 2 shown]
	v_add_f64 v[142:143], v[73:74], -v[77:78]
	v_add_f64 v[120:121], v[98:99], v[102:103]
	v_add_f64 v[122:123], v[100:101], v[104:105]
	v_add_f64 v[144:145], v[71:72], -v[75:76]
	v_add_f64 v[130:131], v[90:91], v[79:80]
	v_add_f64 v[132:133], v[92:93], v[81:82]
	v_add_f64 v[146:147], v[81:82], -v[85:86]
	v_add_f64 v[148:149], v[79:80], -v[83:84]
	v_add_f64 v[134:135], v[94:95], v[98:99]
	v_add_f64 v[136:137], v[96:97], v[100:101]
	v_add_f64 v[100:101], v[100:101], -v[104:105]
	v_fma_f64 v[140:141], v[52:53], -0.5, v[63:64]
	v_fma_f64 v[106:107], v[106:107], -0.5, v[65:66]
	v_add_f64 v[52:53], v[114:115], v[59:60]
	v_add_f64 v[54:55], v[57:58], v[61:62]
	v_fma_f64 v[108:109], v[108:109], -0.5, v[67:68]
	v_fma_f64 v[110:111], v[110:111], -0.5, v[69:70]
	v_and_b32_e32 v176, 0xff, v150
	v_add_f64 v[56:57], v[126:127], v[75:76]
	v_fma_f64 v[90:91], v[112:113], -0.5, v[90:91]
	v_fma_f64 v[92:93], v[116:117], -0.5, v[92:93]
	v_add_f64 v[112:113], v[98:99], -v[102:103]
	v_add_f64 v[58:59], v[128:129], v[77:78]
	v_fma_f64 v[98:99], v[120:121], -0.5, v[94:95]
	v_fma_f64 v[114:115], v[122:123], -0.5, v[96:97]
	v_add_lshl_u32 v222, v202, v154, 4
	v_add_f64 v[60:61], v[130:131], v[83:84]
	v_add_f64 v[62:63], v[132:133], v[85:86]
	;; [unrolled: 1-line block ×4, first 2 shown]
	v_and_b32_e32 v104, 0xffff, v151
	v_fma_f64 v[68:69], v[118:119], s[8:9], v[140:141]
	v_fma_f64 v[70:71], v[124:125], s[10:11], v[106:107]
	;; [unrolled: 1-line block ×16, first 2 shown]
	v_mad_u64_u32 v[102:103], null, v176, 48, s[2:3]
	v_add_lshl_u32 v106, v202, v152, 4
	v_add_lshl_u32 v105, v202, v153, 4
	ds_write_b128 v221, v[52:55]
	ds_write_b128 v221, v[68:71] offset:272
	ds_write_b128 v221, v[72:75] offset:544
	ds_write_b128 v106, v[56:59]
	ds_write_b128 v106, v[76:79] offset:272
	v_add_co_u32 v76, s0, s2, v104
	v_add_co_ci_u32_e64 v77, null, s3, 0, s0
	buffer_store_dword v106, off, s[60:63], 0 offset:20 ; 4-byte Folded Spill
	ds_write_b128 v106, v[80:83] offset:544
	ds_write_b128 v105, v[60:63]
	ds_write_b128 v105, v[84:87] offset:272
	buffer_store_dword v105, off, s[60:63], 0 offset:12 ; 4-byte Folded Spill
	ds_write_b128 v105, v[90:93] offset:544
	ds_write_b128 v222, v[64:67]
	ds_write_b128 v222, v[94:97] offset:272
	ds_write_b128 v222, v[98:101] offset:544
	s_waitcnt lgkmcnt(0)
	s_waitcnt_vscnt null, 0x0
	s_barrier
	buffer_gl0_inv
	s_clause 0x8
	global_load_dwordx4 v[72:75], v[138:139], off offset:544
	global_load_dwordx4 v[68:71], v[138:139], off offset:560
	;; [unrolled: 1-line block ×9, first 2 shown]
	ds_read_b128 v[90:93], v219 offset:4896
	ds_read_b128 v[94:97], v219 offset:9792
	;; [unrolled: 1-line block ×10, first 2 shown]
	ds_read_b128 v[130:133], v219
	ds_read_b128 v[134:137], v219 offset:1632
	v_cmp_lt_u16_e64 s0, 50, v255
	s_waitcnt vmcnt(0) lgkmcnt(0)
	s_barrier
	buffer_gl0_inv
	v_mul_f64 v[154:155], v[108:109], v[66:67]
	v_mul_f64 v[138:139], v[92:93], v[74:75]
	v_mul_f64 v[140:141], v[90:91], v[74:75]
	v_mul_f64 v[142:143], v[96:97], v[70:71]
	v_mul_f64 v[144:145], v[94:95], v[70:71]
	v_mul_f64 v[146:147], v[100:101], v[62:63]
	v_mul_f64 v[148:149], v[98:99], v[62:63]
	v_mul_f64 v[150:151], v[104:105], v[58:59]
	v_mul_f64 v[156:157], v[106:107], v[66:67]
	v_mul_f64 v[158:159], v[112:113], v[54:55]
	v_mul_f64 v[162:163], v[116:117], v[86:87]
	v_mul_f64 v[164:165], v[114:115], v[86:87]
	v_mul_f64 v[166:167], v[120:121], v[82:83]
	v_mul_f64 v[168:169], v[118:119], v[82:83]
	v_mul_f64 v[170:171], v[124:125], v[78:79]
	v_mul_f64 v[172:173], v[122:123], v[78:79]
	v_mul_f64 v[152:153], v[102:103], v[58:59]
	v_mul_f64 v[160:161], v[110:111], v[54:55]
	v_fma_f64 v[106:107], v[106:107], v[64:65], -v[154:155]
	v_fma_f64 v[90:91], v[90:91], v[72:73], -v[138:139]
	v_fma_f64 v[92:93], v[92:93], v[72:73], v[140:141]
	v_fma_f64 v[94:95], v[94:95], v[68:69], -v[142:143]
	v_fma_f64 v[96:97], v[96:97], v[68:69], v[144:145]
	;; [unrolled: 2-line block ×4, first 2 shown]
	v_fma_f64 v[110:111], v[110:111], v[52:53], -v[158:159]
	v_fma_f64 v[114:115], v[114:115], v[84:85], -v[162:163]
	v_fma_f64 v[116:117], v[116:117], v[84:85], v[164:165]
	v_fma_f64 v[118:119], v[118:119], v[80:81], -v[166:167]
	v_fma_f64 v[120:121], v[120:121], v[80:81], v[168:169]
	;; [unrolled: 2-line block ×3, first 2 shown]
	v_fma_f64 v[104:105], v[104:105], v[56:57], v[152:153]
	v_fma_f64 v[112:113], v[112:113], v[52:53], v[160:161]
	v_mad_u64_u32 v[150:151], null, 0x50, v255, s[2:3]
	v_add_f64 v[142:143], v[134:135], -v[106:107]
	v_add_f64 v[138:139], v[130:131], -v[94:95]
	;; [unrolled: 1-line block ×12, first 2 shown]
	v_fma_f64 v[120:121], v[130:131], 2.0, -v[138:139]
	v_fma_f64 v[124:125], v[132:133], 2.0, -v[140:141]
	;; [unrolled: 1-line block ×7, first 2 shown]
	v_add_f64 v[90:91], v[138:139], -v[96:97]
	v_add_f64 v[92:93], v[140:141], v[94:95]
	v_fma_f64 v[134:135], v[126:127], 2.0, -v[146:147]
	v_fma_f64 v[136:137], v[128:129], 2.0, -v[148:149]
	;; [unrolled: 1-line block ×4, first 2 shown]
	v_add_f64 v[96:97], v[144:145], v[106:107]
	v_fma_f64 v[104:105], v[104:105], 2.0, -v[98:99]
	v_add_f64 v[94:95], v[142:143], -v[98:99]
	v_add_f64 v[106:107], v[146:147], -v[110:111]
	v_add_f64 v[108:109], v[148:149], v[108:109]
	v_add_f64 v[98:99], v[120:121], -v[100:101]
	v_add_f64 v[100:101], v[124:125], -v[112:113]
	;; [unrolled: 1-line block ×5, first 2 shown]
	v_cndmask_b32_e64 v114, 0, 0xcc, s0
	v_add_f64 v[104:105], v[132:133], -v[104:105]
	v_mov_b32_e32 v115, 0xcc
	v_fma_f64 v[116:117], v[140:141], 2.0, -v[92:93]
	v_fma_f64 v[118:119], v[142:143], 2.0, -v[94:95]
	v_add_nc_u32_e32 v154, v88, v114
	v_add_co_u32 v152, s0, 0xbb0, v150
	v_mul_u32_u24_sdwa v88, v174, v115 dst_sel:DWORD dst_unused:UNUSED_PAD src0_sel:WORD_0 src1_sel:DWORD
	v_fma_f64 v[114:115], v[138:139], 2.0, -v[90:91]
	v_and_b32_e32 v138, 0xffff, v89
	v_fma_f64 v[122:123], v[120:121], 2.0, -v[98:99]
	v_fma_f64 v[124:125], v[124:125], 2.0, -v[100:101]
	;; [unrolled: 1-line block ×3, first 2 shown]
	v_add_nc_u32_e32 v139, v88, v176
	v_fma_f64 v[126:127], v[130:131], 2.0, -v[102:103]
	v_fma_f64 v[130:131], v[146:147], 2.0, -v[106:107]
	v_add_co_ci_u32_e64 v153, s0, 0, v151, s0
	v_add_lshl_u32 v228, v202, v154, 4
	v_fma_f64 v[134:135], v[134:135], 2.0, -v[110:111]
	v_fma_f64 v[136:137], v[136:137], 2.0, -v[112:113]
	v_add_lshl_u32 v139, v202, v139, 4
	v_fma_f64 v[128:129], v[132:133], 2.0, -v[104:105]
	v_fma_f64 v[132:133], v[148:149], 2.0, -v[108:109]
	v_add_co_u32 v88, s0, 0x800, v150
	v_add_lshl_u32 v138, v202, v138, 4
	v_add_co_ci_u32_e64 v89, s0, 0, v151, s0
	ds_write_b128 v228, v[90:93] offset:2448
	ds_write_b128 v228, v[114:117] offset:816
	;; [unrolled: 1-line block ×3, first 2 shown]
	ds_write_b128 v228, v[122:125]
	ds_write_b128 v139, v[126:129]
	ds_write_b128 v139, v[118:121] offset:816
	ds_write_b128 v139, v[102:105] offset:1632
	buffer_store_dword v139, off, s[60:63], 0 offset:36 ; 4-byte Folded Spill
	ds_write_b128 v139, v[94:97] offset:2448
	ds_write_b128 v138, v[134:137]
	ds_write_b128 v138, v[130:133] offset:816
	ds_write_b128 v138, v[110:113] offset:1632
	v_add_co_u32 v96, s0, 0x2b90, v150
	v_add_co_ci_u32_e64 v97, s0, 0, v151, s0
	buffer_store_dword v138, off, s[60:63], 0 offset:28 ; 4-byte Folded Spill
	ds_write_b128 v138, v[106:109] offset:2448
	s_waitcnt lgkmcnt(0)
	s_waitcnt_vscnt null, 0x0
	s_barrier
	buffer_gl0_inv
	s_clause 0x1
	global_load_dwordx4 v[92:95], v[152:153], off offset:32
	global_load_dwordx4 v[120:123], v[88:89], off offset:1008
	v_add_co_u32 v90, s0, 0x2800, v150
	v_add_co_ci_u32_e64 v91, s0, 0, v151, s0
	s_clause 0x7
	global_load_dwordx4 v[116:119], v[96:97], off offset:32
	global_load_dwordx4 v[124:127], v[90:91], off offset:976
	;; [unrolled: 1-line block ×8, first 2 shown]
	ds_read_b128 v[128:131], v219 offset:9792
	ds_read_b128 v[132:135], v219 offset:16320
	;; [unrolled: 1-line block ×8, first 2 shown]
	s_waitcnt vmcnt(9) lgkmcnt(7)
	v_mul_f64 v[162:163], v[128:129], v[94:95]
	s_waitcnt vmcnt(8) lgkmcnt(6)
	v_mul_f64 v[164:165], v[132:133], v[122:123]
	;; [unrolled: 2-line block ×4, first 2 shown]
	v_mul_f64 v[160:161], v[130:131], v[94:95]
	v_mul_f64 v[166:167], v[134:135], v[122:123]
	;; [unrolled: 1-line block ×4, first 2 shown]
	s_waitcnt vmcnt(5) lgkmcnt(3)
	v_mul_f64 v[176:177], v[146:147], v[106:107]
	v_mul_f64 v[178:179], v[144:145], v[106:107]
	s_waitcnt vmcnt(4) lgkmcnt(2)
	v_mul_f64 v[180:181], v[150:151], v[90:91]
	v_mul_f64 v[182:183], v[148:149], v[90:91]
	v_fma_f64 v[162:163], v[130:131], v[92:93], v[162:163]
	v_fma_f64 v[164:165], v[134:135], v[120:121], v[164:165]
	v_fma_f64 v[168:169], v[136:137], v[116:117], -v[168:169]
	v_fma_f64 v[140:141], v[140:141], v[124:125], -v[174:175]
	;; [unrolled: 1-line block ×4, first 2 shown]
	ds_read_b128 v[128:131], v219 offset:8160
	ds_read_b128 v[132:135], v219 offset:14688
	v_fma_f64 v[170:171], v[138:139], v[116:117], v[170:171]
	v_fma_f64 v[142:143], v[142:143], v[124:125], v[172:173]
	s_waitcnt vmcnt(3) lgkmcnt(2)
	v_mul_f64 v[136:137], v[158:159], v[114:115]
	s_waitcnt vmcnt(2)
	v_mul_f64 v[172:173], v[154:155], v[110:111]
	v_mul_f64 v[174:175], v[152:153], v[110:111]
	v_fma_f64 v[144:145], v[144:145], v[104:105], -v[176:177]
	v_fma_f64 v[146:147], v[146:147], v[104:105], v[178:179]
	v_fma_f64 v[148:149], v[148:149], v[88:89], -v[180:181]
	v_fma_f64 v[150:151], v[150:151], v[88:89], v[182:183]
	v_mul_f64 v[138:139], v[156:157], v[114:115]
	v_add_f64 v[176:177], v[162:163], v[164:165]
	s_waitcnt vmcnt(1) lgkmcnt(1)
	v_mul_f64 v[184:185], v[130:131], v[102:103]
	s_waitcnt vmcnt(0) lgkmcnt(0)
	v_mul_f64 v[188:189], v[134:135], v[98:99]
	v_add_f64 v[182:183], v[168:169], v[140:141]
	v_add_f64 v[178:179], v[160:161], v[166:167]
	v_mul_f64 v[186:187], v[128:129], v[102:103]
	v_mul_f64 v[190:191], v[132:133], v[98:99]
	v_add_f64 v[180:181], v[170:171], v[142:143]
	v_fma_f64 v[156:157], v[156:157], v[112:113], -v[136:137]
	v_fma_f64 v[152:153], v[152:153], v[108:109], -v[172:173]
	v_fma_f64 v[154:155], v[154:155], v[108:109], v[174:175]
	v_add_f64 v[174:175], v[160:161], -v[166:167]
	v_add_f64 v[172:173], v[162:163], -v[164:165]
	v_fma_f64 v[158:159], v[158:159], v[112:113], v[138:139]
	ds_read_b128 v[136:139], v219
	v_fma_f64 v[176:177], v[176:177], -0.5, v[146:147]
	v_add_f64 v[146:147], v[146:147], v[162:163]
	v_fma_f64 v[184:185], v[128:129], v[100:101], -v[184:185]
	v_fma_f64 v[132:133], v[132:133], v[96:97], -v[188:189]
	v_add_f64 v[188:189], v[170:171], -v[142:143]
	v_fma_f64 v[182:183], v[182:183], -0.5, v[148:149]
	v_fma_f64 v[178:179], v[178:179], -0.5, v[144:145]
	v_fma_f64 v[186:187], v[130:131], v[100:101], v[186:187]
	ds_read_b128 v[128:131], v219 offset:1632
	v_fma_f64 v[134:135], v[134:135], v[96:97], v[190:191]
	v_add_f64 v[190:191], v[168:169], -v[140:141]
	v_fma_f64 v[180:181], v[180:181], -0.5, v[150:151]
	v_add_f64 v[192:193], v[156:157], v[152:153]
	v_add_f64 v[144:145], v[144:145], v[160:161]
	s_waitcnt lgkmcnt(1)
	v_add_f64 v[194:195], v[136:137], v[156:157]
	v_add_f64 v[196:197], v[158:159], v[154:155]
	v_add_f64 v[198:199], v[158:159], -v[154:155]
	v_add_f64 v[148:149], v[148:149], v[168:169]
	v_add_f64 v[158:159], v[138:139], v[158:159]
	v_add_f64 v[156:157], v[156:157], -v[152:153]
	v_add_f64 v[150:151], v[150:151], v[170:171]
	v_fma_f64 v[200:201], v[174:175], s[10:11], v[176:177]
	v_fma_f64 v[174:175], v[174:175], s[8:9], v[176:177]
	v_add_f64 v[146:147], v[146:147], v[164:165]
	v_add_f64 v[176:177], v[184:185], v[132:133]
	v_add_f64 v[170:171], v[184:185], -v[132:133]
	v_fma_f64 v[206:207], v[188:189], s[10:11], v[182:183]
	v_fma_f64 v[202:203], v[172:173], s[10:11], v[178:179]
	;; [unrolled: 1-line block ×3, first 2 shown]
	s_waitcnt lgkmcnt(0)
	v_add_f64 v[160:161], v[128:129], v[184:185]
	v_add_f64 v[168:169], v[186:187], -v[134:135]
	v_add_f64 v[178:179], v[186:187], v[134:135]
	v_fma_f64 v[204:205], v[190:191], s[10:11], v[180:181]
	v_fma_f64 v[180:181], v[190:191], s[8:9], v[180:181]
	v_fma_f64 v[136:137], v[192:193], -0.5, v[136:137]
	v_fma_f64 v[182:183], v[188:189], s[8:9], v[182:183]
	v_add_f64 v[162:163], v[130:131], v[186:187]
	v_fma_f64 v[138:139], v[196:197], -0.5, v[138:139]
	v_add_f64 v[152:153], v[194:195], v[152:153]
	v_add_f64 v[148:149], v[148:149], v[140:141]
	;; [unrolled: 1-line block ×5, first 2 shown]
	v_mul_f64 v[184:185], v[200:201], s[8:9]
	v_mul_f64 v[190:191], v[174:175], -0.5
	v_fma_f64 v[128:129], v[176:177], -0.5, v[128:129]
	v_mul_f64 v[176:177], v[206:207], -0.5
	v_mul_f64 v[186:187], v[202:203], -0.5
	v_mul_f64 v[188:189], v[172:173], s[10:11]
	v_add_f64 v[132:133], v[160:161], v[132:133]
	v_fma_f64 v[130:131], v[178:179], -0.5, v[130:131]
	v_mul_f64 v[158:159], v[204:205], s[8:9]
	v_mul_f64 v[192:193], v[180:181], -0.5
	v_fma_f64 v[194:195], v[198:199], s[8:9], v[136:137]
	v_fma_f64 v[136:137], v[198:199], s[10:11], v[136:137]
	v_mul_f64 v[178:179], v[182:183], s[10:11]
	v_fma_f64 v[196:197], v[156:157], s[10:11], v[138:139]
	v_fma_f64 v[138:139], v[156:157], s[8:9], v[138:139]
	v_add_f64 v[134:135], v[162:163], v[134:135]
	v_fma_f64 v[156:157], v[172:173], 0.5, v[184:185]
	v_fma_f64 v[198:199], v[168:169], s[10:11], v[128:129]
	v_fma_f64 v[176:177], v[180:181], s[8:9], v[176:177]
	;; [unrolled: 1-line block ×3, first 2 shown]
	v_fma_f64 v[186:187], v[200:201], 0.5, v[188:189]
	v_fma_f64 v[188:189], v[202:203], s[10:11], v[190:191]
	v_fma_f64 v[190:191], v[168:169], s[8:9], v[128:129]
	v_add_f64 v[140:141], v[132:133], v[148:149]
	v_add_f64 v[160:161], v[132:133], -v[148:149]
	v_fma_f64 v[200:201], v[170:171], s[10:11], v[130:131]
	v_fma_f64 v[202:203], v[170:171], s[8:9], v[130:131]
	v_fma_f64 v[182:183], v[182:183], 0.5, v[158:159]
	v_fma_f64 v[178:179], v[204:205], 0.5, v[178:179]
	v_fma_f64 v[180:181], v[206:207], s[10:11], v[192:193]
	v_add_f64 v[128:129], v[152:153], v[144:145]
	v_add_f64 v[130:131], v[154:155], v[146:147]
	v_add_f64 v[152:153], v[152:153], -v[144:145]
	v_add_f64 v[154:155], v[154:155], -v[146:147]
	v_add_f64 v[142:143], v[134:135], v[150:151]
	v_add_f64 v[162:163], v[134:135], -v[150:151]
	v_add_f64 v[172:173], v[194:195], v[156:157]
	;; [unrolled: 2-line block ×3, first 2 shown]
	v_add_f64 v[132:133], v[198:199], -v[176:177]
	buffer_load_dword v176, off, s[60:63], 0 offset:8 ; 4-byte Folded Reload
	v_add_f64 v[164:165], v[136:137], v[184:185]
	v_add_f64 v[174:175], v[196:197], v[186:187]
	;; [unrolled: 1-line block ×3, first 2 shown]
	v_add_f64 v[148:149], v[136:137], -v[184:185]
	v_add_f64 v[146:147], v[196:197], -v[186:187]
	;; [unrolled: 1-line block ×3, first 2 shown]
	v_add_f64 v[156:157], v[190:191], v[182:183]
	v_add_f64 v[158:159], v[200:201], v[178:179]
	;; [unrolled: 1-line block ×3, first 2 shown]
	v_add_f64 v[136:137], v[190:191], -v[182:183]
	v_add_f64 v[138:139], v[200:201], -v[178:179]
	;; [unrolled: 1-line block ×3, first 2 shown]
	s_waitcnt vmcnt(0)
	v_lshl_add_u32 v223, v255, 4, v176
	v_lshl_add_u32 v220, v255, 4, v176
	ds_write_b128 v223, v[128:131]
	ds_write_b128 v220, v[152:155] offset:9792
	ds_write_b128 v220, v[140:143] offset:1632
	;; [unrolled: 1-line block ×11, first 2 shown]
	s_waitcnt lgkmcnt(0)
	s_barrier
	buffer_gl0_inv
	s_and_saveexec_b32 s1, vcc_lo
	s_cbranch_execz .LBB0_9
; %bb.8:
	v_lshlrev_b32_e32 v218, 4, v255
	s_add_u32 s2, s12, 0x4c80
	s_addc_u32 s3, s13, 0
	s_clause 0x1
	global_load_dwordx4 v[176:179], v218, s[2:3]
	global_load_dwordx4 v[180:183], v218, s[2:3] offset:1152
	v_add_co_u32 v192, s0, s2, v218
	v_add_co_ci_u32_e64 v193, null, s3, 0, s0
	v_add_co_u32 v188, s0, 0x800, v192
	v_add_co_ci_u32_e64 v189, s0, 0, v193, s0
	v_add_co_u32 v198, s0, 0x1000, v192
	s_clause 0x1
	global_load_dwordx4 v[184:187], v[188:189], off offset:256
	global_load_dwordx4 v[188:191], v[188:189], off offset:1408
	v_add_co_ci_u32_e64 v199, s0, 0, v193, s0
	s_clause 0x1
	global_load_dwordx4 v[194:197], v[198:199], off offset:512
	global_load_dwordx4 v[198:201], v[198:199], off offset:1664
	v_add_co_u32 v206, s0, 0x1800, v192
	v_add_co_ci_u32_e64 v207, s0, 0, v193, s0
	s_clause 0x1
	global_load_dwordx4 v[202:205], v[206:207], off offset:768
	global_load_dwordx4 v[206:209], v[206:207], off offset:1920
	v_add_co_u32 v210, s0, 0x2000, v192
	v_add_co_ci_u32_e64 v211, s0, 0, v193, s0
	v_add_co_u32 v224, s0, 0x2800, v192
	v_add_co_ci_u32_e64 v225, s0, 0, v193, s0
	global_load_dwordx4 v[210:213], v[210:211], off offset:1024
	ds_read_b128 v[214:217], v223
	s_clause 0x1
	global_load_dwordx4 v[229:232], v[224:225], off offset:128
	global_load_dwordx4 v[233:236], v[224:225], off offset:1280
	s_waitcnt vmcnt(10) lgkmcnt(0)
	v_mul_f64 v[226:227], v[216:217], v[178:179]
	v_mul_f64 v[178:179], v[214:215], v[178:179]
	v_fma_f64 v[214:215], v[214:215], v[176:177], -v[226:227]
	v_fma_f64 v[216:217], v[216:217], v[176:177], v[178:179]
	v_add_co_u32 v226, s0, 0x3000, v192
	v_add_co_ci_u32_e64 v227, s0, 0, v193, s0
	ds_write_b128 v223, v[214:217]
	ds_read_b128 v[176:179], v220 offset:1152
	ds_read_b128 v[214:217], v220 offset:2304
	;; [unrolled: 1-line block ×3, first 2 shown]
	global_load_dwordx4 v[241:244], v[226:227], off offset:384
	s_waitcnt vmcnt(10) lgkmcnt(2)
	v_mul_f64 v[224:225], v[178:179], v[182:183]
	v_mul_f64 v[182:183], v[176:177], v[182:183]
	s_waitcnt vmcnt(9) lgkmcnt(1)
	v_mul_f64 v[245:246], v[216:217], v[186:187]
	v_mul_f64 v[186:187], v[214:215], v[186:187]
	v_fma_f64 v[176:177], v[176:177], v[180:181], -v[224:225]
	s_waitcnt vmcnt(8) lgkmcnt(0)
	v_mul_f64 v[224:225], v[239:240], v[190:191]
	v_mul_f64 v[190:191], v[237:238], v[190:191]
	v_fma_f64 v[178:179], v[178:179], v[180:181], v[182:183]
	v_fma_f64 v[180:181], v[214:215], v[184:185], -v[245:246]
	v_fma_f64 v[182:183], v[216:217], v[184:185], v[186:187]
	ds_read_b128 v[214:217], v220 offset:4608
	ds_read_b128 v[245:248], v220 offset:5760
	;; [unrolled: 1-line block ×3, first 2 shown]
	v_fma_f64 v[184:185], v[237:238], v[188:189], -v[224:225]
	v_fma_f64 v[186:187], v[239:240], v[188:189], v[190:191]
	global_load_dwordx4 v[237:240], v[226:227], off offset:1536
	s_waitcnt vmcnt(8) lgkmcnt(2)
	v_mul_f64 v[188:189], v[216:217], v[196:197]
	v_mul_f64 v[190:191], v[214:215], v[196:197]
	s_waitcnt vmcnt(7) lgkmcnt(1)
	v_mul_f64 v[224:225], v[247:248], v[200:201]
	v_mul_f64 v[200:201], v[245:246], v[200:201]
	v_add_co_u32 v226, s0, 0x3800, v192
	v_add_co_ci_u32_e64 v227, s0, 0, v193, s0
	v_add_co_u32 v192, s0, 0x4000, v192
	v_add_co_ci_u32_e64 v193, s0, 0, v193, s0
	v_fma_f64 v[188:189], v[214:215], v[194:195], -v[188:189]
	v_fma_f64 v[190:191], v[216:217], v[194:195], v[190:191]
	v_fma_f64 v[214:215], v[245:246], v[198:199], -v[224:225]
	v_fma_f64 v[216:217], v[247:248], v[198:199], v[200:201]
	global_load_dwordx4 v[198:201], v[226:227], off offset:640
	ds_read_b128 v[194:197], v220 offset:6912
	ds_read_b128 v[247:250], v220 offset:16128
	s_waitcnt vmcnt(7) lgkmcnt(1)
	v_mul_f64 v[224:225], v[196:197], v[204:205]
	v_mul_f64 v[204:205], v[194:195], v[204:205]
	v_fma_f64 v[194:195], v[194:195], v[202:203], -v[224:225]
	v_fma_f64 v[196:197], v[196:197], v[202:203], v[204:205]
	ds_read_b128 v[202:205], v220 offset:8064
	s_waitcnt vmcnt(6) lgkmcnt(0)
	v_mul_f64 v[224:225], v[204:205], v[208:209]
	v_mul_f64 v[208:209], v[202:203], v[208:209]
	v_fma_f64 v[202:203], v[202:203], v[206:207], -v[224:225]
	v_fma_f64 v[204:205], v[204:205], v[206:207], v[208:209]
	;; [unrolled: 6-line block ×8, first 2 shown]
	global_load_dwordx4 v[198:201], v[226:227], off offset:1792
	s_waitcnt vmcnt(0)
	v_mul_f64 v[224:225], v[249:250], v[200:201]
	v_mul_f64 v[200:201], v[247:248], v[200:201]
	v_fma_f64 v[247:248], v[247:248], v[198:199], -v[224:225]
	v_fma_f64 v[249:250], v[249:250], v[198:199], v[200:201]
	global_load_dwordx4 v[198:201], v[192:193], off offset:896
	ds_read_b128 v[224:227], v220 offset:18432
	s_waitcnt vmcnt(0)
	v_mul_f64 v[192:193], v[253:254], v[200:201]
	v_mul_f64 v[200:201], v[251:252], v[200:201]
	v_fma_f64 v[251:252], v[251:252], v[198:199], -v[192:193]
	v_or_b32_e32 v192, 0x4800, v218
	v_fma_f64 v[253:254], v[253:254], v[198:199], v[200:201]
	global_load_dwordx4 v[198:201], v192, s[2:3]
	s_waitcnt vmcnt(0) lgkmcnt(0)
	v_mul_f64 v[192:193], v[226:227], v[200:201]
	v_mul_f64 v[200:201], v[224:225], v[200:201]
	v_fma_f64 v[224:225], v[224:225], v[198:199], -v[192:193]
	v_fma_f64 v[226:227], v[226:227], v[198:199], v[200:201]
	ds_write_b128 v220, v[176:179] offset:1152
	ds_write_b128 v220, v[180:183] offset:2304
	;; [unrolled: 1-line block ×16, first 2 shown]
.LBB0_9:
	s_or_b32 exec_lo, exec_lo, s1
	s_waitcnt lgkmcnt(0)
	s_barrier
	buffer_gl0_inv
	s_and_saveexec_b32 s0, vcc_lo
	s_cbranch_execz .LBB0_11
; %bb.10:
	ds_read_b128 v[128:131], v223
	ds_read_b128 v[172:175], v223 offset:1152
	ds_read_b128 v[164:167], v223 offset:2304
	;; [unrolled: 1-line block ×16, first 2 shown]
.LBB0_11:
	s_or_b32 exec_lo, exec_lo, s0
	v_add_nc_u32_e32 v202, 0x660, v220
	s_waitcnt lgkmcnt(0)
	s_barrier
	buffer_gl0_inv
	s_and_saveexec_b32 s33, vcc_lo
	s_cbranch_execz .LBB0_13
; %bb.12:
	v_add_f64 v[176:177], v[130:131], v[174:175]
	v_add_f64 v[178:179], v[128:129], v[172:173]
	v_add_f64 v[217:218], v[172:173], -v[0:1]
	s_mov_b32 s0, 0xacd6c6b4
	s_mov_b32 s1, 0xbfc7851a
	v_add_f64 v[205:206], v[174:175], -v[2:3]
	v_add_f64 v[184:185], v[164:165], -v[4:5]
	v_add_f64 v[215:216], v[2:3], v[174:175]
	s_mov_b32 s8, 0x5d8e7cdc
	s_mov_b32 s2, 0x7faef3
	;; [unrolled: 1-line block ×4, first 2 shown]
	v_add_f64 v[182:183], v[166:167], -v[6:7]
	v_add_f64 v[213:214], v[0:1], v[172:173]
	v_add_f64 v[190:191], v[152:153], -v[8:9]
	v_add_f64 v[194:195], v[6:7], v[166:167]
	s_mov_b32 s18, 0x4363dd80
	s_mov_b32 s10, 0x370991
	;; [unrolled: 1-line block ×4, first 2 shown]
	v_add_f64 v[172:173], v[170:171], v[162:163]
	v_add_f64 v[188:189], v[154:155], -v[10:11]
	v_add_f64 v[176:177], v[166:167], v[176:177]
	v_add_f64 v[178:179], v[164:165], v[178:179]
	v_mul_f64 v[196:197], v[217:218], s[0:1]
	v_add_f64 v[192:193], v[4:5], v[164:165]
	v_add_f64 v[166:167], v[144:145], -v[12:13]
	v_mul_f64 v[200:201], v[205:206], s[0:1]
	v_mul_f64 v[207:208], v[184:185], s[8:9]
	s_mov_b32 s16, 0x910ea3b9
	s_mov_b32 s20, 0x2a9d6da3
	;; [unrolled: 1-line block ×4, first 2 shown]
	v_add_f64 v[174:175], v[168:169], -v[160:161]
	v_mul_f64 v[224:225], v[182:183], s[8:9]
	v_add_f64 v[186:187], v[148:149], -v[16:17]
	s_mov_b32 s28, 0x6c9a05f6
	s_mov_b32 s22, 0x75d4884
	;; [unrolled: 1-line block ×4, first 2 shown]
	v_add_f64 v[164:165], v[18:19], v[150:151]
	s_mov_b32 s30, 0x7c9e640b
	s_mov_b32 s24, 0x6ed5f1bb
	v_mul_f64 v[231:232], v[188:189], s[18:19]
	v_add_f64 v[176:177], v[154:155], v[176:177]
	v_add_f64 v[178:179], v[152:153], v[178:179]
	v_fma_f64 v[209:210], v[215:216], s[2:3], v[196:197]
	v_fma_f64 v[226:227], v[215:216], s[2:3], -v[196:197]
	v_add_f64 v[196:197], v[152:153], v[8:9]
	v_fma_f64 v[211:212], v[213:214], s[2:3], -v[200:201]
	v_fma_f64 v[233:234], v[213:214], s[2:3], v[200:201]
	v_fma_f64 v[235:236], v[194:195], s[10:11], v[207:208]
	v_add_f64 v[152:153], v[168:169], v[160:161]
	v_fma_f64 v[243:244], v[194:195], s[10:11], -v[207:208]
	v_add_f64 v[200:201], v[16:17], v[148:149]
	v_add_f64 v[207:208], v[150:151], -v[18:19]
	v_fma_f64 v[239:240], v[192:193], s[10:11], -v[224:225]
	s_mov_b32 s31, 0x3feca52d
	s_mov_b32 s25, 0xbfe348c8
	;; [unrolled: 1-line block ×9, first 2 shown]
	v_add_f64 v[176:177], v[146:147], v[176:177]
	v_add_f64 v[178:179], v[144:145], v[178:179]
	;; [unrolled: 1-line block ×8, first 2 shown]
	s_mov_b32 s37, 0xbfd183b1
	s_mov_b32 s34, 0x3259b75e
	;; [unrolled: 1-line block ×9, first 2 shown]
	v_mul_f64 v[253:254], v[174:175], s[38:39]
	buffer_store_dword v221, off, s[60:63], 0 offset:48 ; 4-byte Folded Spill
	buffer_store_dword v222, off, s[60:63], 0 offset:56 ; 4-byte Folded Spill
	s_mov_b32 s42, s38
	s_mov_b32 s51, 0xbfe58eea
	;; [unrolled: 1-line block ×3, first 2 shown]
	v_add_f64 v[176:177], v[150:151], v[176:177]
	v_add_f64 v[178:179], v[148:149], v[178:179]
	;; [unrolled: 1-line block ×5, first 2 shown]
	s_mov_b32 s53, 0xbfeca52d
	s_mov_b32 s52, s30
	;; [unrolled: 1-line block ×4, first 2 shown]
	v_add_f64 v[180:181], v[142:143], v[176:177]
	v_add_f64 v[178:179], v[140:141], v[178:179]
	v_add_f64 v[176:177], v[156:157], -v[136:137]
	v_add_f64 v[198:199], v[158:159], v[180:181]
	v_add_f64 v[203:204], v[156:157], v[178:179]
	v_add_f64 v[180:181], v[140:141], -v[132:133]
	v_add_f64 v[178:179], v[134:135], v[142:143]
	v_add_f64 v[229:230], v[170:171], v[198:199]
	;; [unrolled: 1-line block ×4, first 2 shown]
	v_add_f64 v[154:155], v[170:171], -v[162:163]
	v_mul_f64 v[170:171], v[190:191], s[18:19]
	v_add_f64 v[168:169], v[146:147], -v[14:15]
	v_add_f64 v[146:147], v[235:236], v[237:238]
	v_mul_f64 v[237:238], v[205:206], s[18:19]
	v_add_f64 v[229:230], v[162:163], v[229:230]
	v_add_f64 v[245:246], v[160:161], v[203:204]
	v_add_f64 v[203:204], v[142:143], -v[134:135]
	v_add_f64 v[162:163], v[132:133], v[140:141]
	v_mul_f64 v[140:141], v[166:167], s[20:21]
	v_fma_f64 v[142:143], v[192:193], s[10:11], v[224:225]
	v_fma_f64 v[156:157], v[198:199], s[16:17], v[170:171]
	v_add_f64 v[160:161], v[158:159], -v[138:139]
	v_add_f64 v[158:159], v[239:240], v[241:242]
	v_fma_f64 v[224:225], v[196:197], s[16:17], -v[231:232]
	v_mul_f64 v[233:234], v[168:169], s[20:21]
	v_fma_f64 v[170:171], v[198:199], s[16:17], -v[170:171]
	v_fma_f64 v[231:232], v[196:197], s[16:17], v[231:232]
	v_mul_f64 v[239:240], v[184:185], s[30:31]
	v_mul_f64 v[221:222], v[154:155], s[38:39]
	v_add_f64 v[229:230], v[138:139], v[229:230]
	v_add_f64 v[235:236], v[136:137], v[245:246]
	;; [unrolled: 1-line block ×3, first 2 shown]
	v_mul_f64 v[144:145], v[186:187], s[28:29]
	v_add_f64 v[146:147], v[156:157], v[146:147]
	v_fma_f64 v[156:157], v[211:212], s[22:23], v[140:141]
	v_add_f64 v[158:159], v[224:225], v[158:159]
	v_fma_f64 v[224:225], v[209:210], s[22:23], -v[233:234]
	v_add_f64 v[170:171], v[170:171], v[226:227]
	v_mul_f64 v[226:227], v[207:208], s[28:29]
	v_fma_f64 v[140:141], v[211:212], s[22:23], -v[140:141]
	v_fma_f64 v[233:234], v[209:210], s[22:23], v[233:234]
	v_add_f64 v[229:230], v[134:135], v[229:230]
	v_add_f64 v[142:143], v[231:232], v[142:143]
	v_mul_f64 v[231:232], v[180:181], s[30:31]
	v_add_f64 v[146:147], v[156:157], v[146:147]
	v_fma_f64 v[156:157], v[164:165], s[24:25], v[144:145]
	v_add_f64 v[158:159], v[224:225], v[158:159]
	v_fma_f64 v[144:145], v[164:165], s[24:25], -v[144:145]
	v_fma_f64 v[224:225], v[200:201], s[24:25], -v[226:227]
	v_add_f64 v[140:141], v[140:141], v[170:171]
	v_mul_f64 v[170:171], v[203:204], s[30:31]
	v_fma_f64 v[226:227], v[200:201], s[24:25], v[226:227]
	v_add_f64 v[229:230], v[18:19], v[229:230]
	v_add_f64 v[142:143], v[233:234], v[142:143]
	v_mul_f64 v[233:234], v[176:177], s[38:39]
	v_add_f64 v[146:147], v[156:157], v[146:147]
	v_fma_f64 v[156:157], v[178:179], s[26:27], v[231:232]
	v_fma_f64 v[231:232], v[178:179], s[26:27], -v[231:232]
	v_add_f64 v[158:159], v[224:225], v[158:159]
	v_add_f64 v[140:141], v[144:145], v[140:141]
	v_fma_f64 v[224:225], v[162:163], s[26:27], -v[170:171]
	v_mul_f64 v[144:145], v[160:161], s[38:39]
	v_fma_f64 v[170:171], v[162:163], s[26:27], v[170:171]
	v_add_f64 v[229:230], v[14:15], v[229:230]
	v_add_f64 v[142:143], v[226:227], v[142:143]
	v_mul_f64 v[226:227], v[174:175], s[48:49]
	v_add_f64 v[146:147], v[156:157], v[146:147]
	v_fma_f64 v[156:157], v[150:151], s[36:37], v[233:234]
	v_fma_f64 v[233:234], v[150:151], s[36:37], -v[233:234]
	v_add_f64 v[140:141], v[231:232], v[140:141]
	v_add_f64 v[158:159], v[224:225], v[158:159]
	v_fma_f64 v[224:225], v[148:149], s[36:37], -v[144:145]
	v_mul_f64 v[231:232], v[154:155], s[48:49]
	v_fma_f64 v[144:145], v[148:149], s[36:37], v[144:145]
	v_add_f64 v[10:11], v[10:11], v[229:230]
	v_add_f64 v[142:143], v[170:171], v[142:143]
	v_mul_f64 v[170:171], v[217:218], s[18:19]
	v_add_f64 v[146:147], v[156:157], v[146:147]
	v_fma_f64 v[156:157], v[172:173], s[34:35], v[226:227]
	v_add_f64 v[140:141], v[233:234], v[140:141]
	v_mul_f64 v[233:234], v[182:183], s[30:31]
	v_add_f64 v[158:159], v[224:225], v[158:159]
	v_fma_f64 v[224:225], v[152:153], s[34:35], -v[231:232]
	v_fma_f64 v[226:227], v[172:173], s[34:35], -v[226:227]
	v_fma_f64 v[231:232], v[152:153], s[34:35], v[231:232]
	v_add_f64 v[144:145], v[144:145], v[142:143]
	v_fma_f64 v[241:242], v[215:216], s[16:17], v[170:171]
	v_fma_f64 v[170:171], v[215:216], s[16:17], -v[170:171]
	v_add_f64 v[138:139], v[156:157], v[146:147]
	v_fma_f64 v[146:147], v[213:214], s[16:17], -v[237:238]
	v_mul_f64 v[156:157], v[190:191], s[40:41]
	v_add_f64 v[136:137], v[224:225], v[158:159]
	v_add_f64 v[142:143], v[226:227], v[140:141]
	v_fma_f64 v[224:225], v[192:193], s[26:27], -v[233:234]
	v_add_f64 v[140:141], v[231:232], v[144:145]
	v_fma_f64 v[144:145], v[194:195], s[26:27], v[239:240]
	v_add_f64 v[158:159], v[130:131], v[241:242]
	v_fma_f64 v[239:240], v[194:195], s[26:27], -v[239:240]
	v_add_f64 v[170:171], v[130:131], v[170:171]
	v_add_f64 v[146:147], v[128:129], v[146:147]
	;; [unrolled: 1-line block ×3, first 2 shown]
	v_fma_f64 v[158:159], v[198:199], s[34:35], v[156:157]
	v_add_f64 v[170:171], v[239:240], v[170:171]
	v_fma_f64 v[156:157], v[198:199], s[34:35], -v[156:157]
	v_mul_f64 v[239:240], v[205:206], s[50:51]
	v_add_f64 v[146:147], v[224:225], v[146:147]
	v_mul_f64 v[224:225], v[188:189], s[40:41]
	v_add_f64 v[144:145], v[158:159], v[144:145]
	v_add_f64 v[156:157], v[156:157], v[170:171]
	v_fma_f64 v[170:171], v[192:193], s[26:27], v[233:234]
	v_add_f64 v[233:234], v[132:133], v[235:236]
	v_fma_f64 v[158:159], v[196:197], s[34:35], -v[224:225]
	v_add_f64 v[146:147], v[158:159], v[146:147]
	v_mul_f64 v[158:159], v[166:167], s[46:47]
	v_fma_f64 v[226:227], v[211:212], s[24:25], v[158:159]
	v_fma_f64 v[158:159], v[211:212], s[24:25], -v[158:159]
	v_add_f64 v[144:145], v[226:227], v[144:145]
	v_mul_f64 v[226:227], v[168:169], s[46:47]
	v_add_f64 v[156:157], v[158:159], v[156:157]
	v_fma_f64 v[158:159], v[213:214], s[16:17], v[237:238]
	v_mul_f64 v[237:238], v[182:183], s[42:43]
	v_fma_f64 v[231:232], v[209:210], s[24:25], -v[226:227]
	v_add_f64 v[158:159], v[128:129], v[158:159]
	v_add_f64 v[146:147], v[231:232], v[146:147]
	v_mul_f64 v[231:232], v[186:187], s[44:45]
	v_add_f64 v[158:159], v[170:171], v[158:159]
	v_fma_f64 v[241:242], v[164:165], s[10:11], v[231:232]
	v_fma_f64 v[170:171], v[164:165], s[10:11], -v[231:232]
	v_fma_f64 v[231:232], v[172:173], s[36:37], -v[253:254]
	v_add_f64 v[144:145], v[241:242], v[144:145]
	v_mul_f64 v[241:242], v[207:208], s[44:45]
	v_add_f64 v[156:157], v[170:171], v[156:157]
	v_fma_f64 v[170:171], v[196:197], s[34:35], v[224:225]
	v_fma_f64 v[243:244], v[200:201], s[10:11], -v[241:242]
	v_add_f64 v[158:159], v[170:171], v[158:159]
	v_add_f64 v[146:147], v[243:244], v[146:147]
	v_mul_f64 v[243:244], v[180:181], s[0:1]
	v_fma_f64 v[245:246], v[178:179], s[2:3], v[243:244]
	v_fma_f64 v[170:171], v[178:179], s[2:3], -v[243:244]
	v_add_f64 v[144:145], v[245:246], v[144:145]
	v_mul_f64 v[245:246], v[203:204], s[0:1]
	v_add_f64 v[156:157], v[170:171], v[156:157]
	v_fma_f64 v[170:171], v[209:210], s[24:25], v[226:227]
	v_fma_f64 v[247:248], v[162:163], s[2:3], -v[245:246]
	v_add_f64 v[158:159], v[170:171], v[158:159]
	v_fma_f64 v[170:171], v[200:201], s[10:11], v[241:242]
	v_add_f64 v[146:147], v[247:248], v[146:147]
	v_mul_f64 v[247:248], v[176:177], s[20:21]
	v_add_f64 v[158:159], v[170:171], v[158:159]
	v_fma_f64 v[170:171], v[162:163], s[2:3], v[245:246]
	v_fma_f64 v[249:250], v[150:151], s[22:23], v[247:248]
	v_fma_f64 v[224:225], v[150:151], s[22:23], -v[247:248]
	v_fma_f64 v[247:248], v[213:214], s[22:23], v[239:240]
	v_add_f64 v[158:159], v[170:171], v[158:159]
	v_mul_f64 v[170:171], v[217:218], s[28:29]
	v_fma_f64 v[239:240], v[213:214], s[22:23], -v[239:240]
	v_add_f64 v[144:145], v[249:250], v[144:145]
	v_mul_f64 v[249:250], v[160:161], s[20:21]
	v_add_f64 v[156:157], v[224:225], v[156:157]
	v_mul_f64 v[224:225], v[205:206], s[28:29]
	v_fma_f64 v[235:236], v[215:216], s[24:25], v[170:171]
	v_fma_f64 v[170:171], v[215:216], s[24:25], -v[170:171]
	v_add_f64 v[247:248], v[128:129], v[247:248]
	v_add_f64 v[239:240], v[128:129], v[239:240]
	v_fma_f64 v[251:252], v[148:149], s[22:23], -v[249:250]
	v_fma_f64 v[226:227], v[148:149], s[22:23], v[249:250]
	v_add_f64 v[134:135], v[231:232], v[156:157]
	v_fma_f64 v[156:157], v[213:214], s[24:25], -v[224:225]
	v_add_f64 v[231:232], v[16:17], v[233:234]
	v_fma_f64 v[16:17], v[192:193], s[36:37], -v[237:238]
	v_add_f64 v[170:171], v[130:131], v[170:171]
	v_fma_f64 v[233:234], v[192:193], s[36:37], v[237:238]
	v_add_f64 v[251:252], v[251:252], v[146:147]
	v_fma_f64 v[146:147], v[172:173], s[36:37], v[253:254]
	v_add_f64 v[158:159], v[226:227], v[158:159]
	v_mul_f64 v[226:227], v[184:185], s[42:43]
	v_add_f64 v[18:19], v[128:129], v[156:157]
	v_mul_f64 v[156:157], v[190:191], s[44:45]
	v_add_f64 v[231:232], v[12:13], v[231:232]
	v_add_f64 v[146:147], v[146:147], v[144:145]
	v_fma_f64 v[144:145], v[152:153], s[36:37], -v[221:222]
	v_fma_f64 v[221:222], v[152:153], s[36:37], v[221:222]
	v_add_f64 v[16:17], v[16:17], v[18:19]
	v_fma_f64 v[18:19], v[198:199], s[10:11], v[156:157]
	v_fma_f64 v[156:157], v[198:199], s[10:11], -v[156:157]
	v_add_f64 v[8:9], v[8:9], v[231:232]
	v_add_f64 v[144:145], v[144:145], v[251:252]
	v_add_f64 v[132:133], v[221:222], v[158:159]
	v_fma_f64 v[158:159], v[194:195], s[36:37], v[226:227]
	v_fma_f64 v[221:222], v[213:214], s[24:25], v[224:225]
	v_add_f64 v[224:225], v[130:131], v[235:236]
	v_fma_f64 v[226:227], v[194:195], s[36:37], -v[226:227]
	v_mul_f64 v[235:236], v[217:218], s[50:51]
	v_add_f64 v[221:222], v[128:129], v[221:222]
	v_add_f64 v[158:159], v[158:159], v[224:225]
	v_mul_f64 v[224:225], v[188:189], s[44:45]
	v_add_f64 v[170:171], v[226:227], v[170:171]
	v_mul_f64 v[226:227], v[166:167], s[18:19]
	v_fma_f64 v[231:232], v[215:216], s[22:23], v[235:236]
	v_add_f64 v[221:222], v[233:234], v[221:222]
	v_add_f64 v[18:19], v[18:19], v[158:159]
	v_fma_f64 v[233:234], v[196:197], s[10:11], -v[224:225]
	v_mul_f64 v[158:159], v[168:169], s[18:19]
	v_fma_f64 v[224:225], v[196:197], s[10:11], v[224:225]
	v_add_f64 v[156:157], v[156:157], v[170:171]
	v_add_f64 v[231:232], v[130:131], v[231:232]
	;; [unrolled: 1-line block ×3, first 2 shown]
	v_fma_f64 v[233:234], v[211:212], s[16:17], v[226:227]
	v_fma_f64 v[170:171], v[209:210], s[16:17], -v[158:159]
	v_add_f64 v[221:222], v[224:225], v[221:222]
	v_mul_f64 v[224:225], v[186:187], s[48:49]
	v_fma_f64 v[226:227], v[211:212], s[16:17], -v[226:227]
	v_fma_f64 v[158:159], v[209:210], s[16:17], v[158:159]
	v_add_f64 v[18:19], v[233:234], v[18:19]
	v_mul_f64 v[233:234], v[207:208], s[48:49]
	v_add_f64 v[16:17], v[170:171], v[16:17]
	v_fma_f64 v[170:171], v[164:165], s[34:35], v[224:225]
	v_add_f64 v[156:157], v[226:227], v[156:157]
	v_mul_f64 v[226:227], v[180:181], s[50:51]
	v_add_f64 v[158:159], v[158:159], v[221:222]
	v_fma_f64 v[224:225], v[164:165], s[34:35], -v[224:225]
	v_fma_f64 v[221:222], v[200:201], s[34:35], -v[233:234]
	v_fma_f64 v[233:234], v[200:201], s[34:35], v[233:234]
	v_add_f64 v[18:19], v[170:171], v[18:19]
	v_mul_f64 v[170:171], v[203:204], s[50:51]
	v_add_f64 v[156:157], v[224:225], v[156:157]
	v_add_f64 v[16:17], v[221:222], v[16:17]
	v_fma_f64 v[221:222], v[178:179], s[22:23], v[226:227]
	v_add_f64 v[158:159], v[233:234], v[158:159]
	v_fma_f64 v[224:225], v[162:163], s[22:23], -v[170:171]
	v_mul_f64 v[233:234], v[176:177], s[0:1]
	v_fma_f64 v[226:227], v[178:179], s[22:23], -v[226:227]
	v_fma_f64 v[170:171], v[162:163], s[22:23], v[170:171]
	v_add_f64 v[18:19], v[221:222], v[18:19]
	v_mul_f64 v[221:222], v[160:161], s[0:1]
	v_add_f64 v[16:17], v[224:225], v[16:17]
	v_fma_f64 v[224:225], v[150:151], s[2:3], v[233:234]
	v_add_f64 v[156:157], v[226:227], v[156:157]
	v_mul_f64 v[226:227], v[174:175], s[30:31]
	v_add_f64 v[158:159], v[170:171], v[158:159]
	v_fma_f64 v[233:234], v[150:151], s[2:3], -v[233:234]
	v_fma_f64 v[170:171], v[148:149], s[2:3], -v[221:222]
	v_fma_f64 v[221:222], v[148:149], s[2:3], v[221:222]
	v_add_f64 v[18:19], v[224:225], v[18:19]
	v_mul_f64 v[224:225], v[154:155], s[30:31]
	v_add_f64 v[156:157], v[233:234], v[156:157]
	v_add_f64 v[16:17], v[170:171], v[16:17]
	v_fma_f64 v[170:171], v[172:173], s[26:27], v[226:227]
	v_add_f64 v[158:159], v[221:222], v[158:159]
	v_fma_f64 v[233:234], v[152:153], s[26:27], -v[224:225]
	v_mul_f64 v[221:222], v[217:218], s[38:39]
	v_fma_f64 v[226:227], v[172:173], s[26:27], -v[226:227]
	v_fma_f64 v[224:225], v[152:153], s[26:27], v[224:225]
	v_add_f64 v[18:19], v[170:171], v[18:19]
	v_mul_f64 v[170:171], v[217:218], s[40:41]
	v_add_f64 v[16:17], v[233:234], v[16:17]
	v_mul_f64 v[233:234], v[217:218], s[52:53]
	v_mul_f64 v[217:218], v[217:218], s[44:45]
	v_fma_f64 v[237:238], v[215:216], s[36:37], v[221:222]
	v_fma_f64 v[221:222], v[215:216], s[36:37], -v[221:222]
	v_add_f64 v[14:15], v[226:227], v[156:157]
	v_add_f64 v[12:13], v[224:225], v[158:159]
	v_fma_f64 v[226:227], v[215:216], s[22:23], -v[235:236]
	v_mul_f64 v[235:236], v[205:206], s[52:53]
	v_fma_f64 v[156:157], v[215:216], s[34:35], v[170:171]
	v_fma_f64 v[158:159], v[215:216], s[34:35], -v[170:171]
	v_fma_f64 v[170:171], v[215:216], s[26:27], v[233:234]
	v_fma_f64 v[224:225], v[215:216], s[26:27], -v[233:234]
	v_fma_f64 v[229:230], v[215:216], s[10:11], -v[217:218]
	v_fma_f64 v[215:216], v[215:216], s[10:11], v[217:218]
	v_mul_f64 v[217:218], v[205:206], s[38:39]
	v_mul_f64 v[233:234], v[205:206], s[40:41]
	;; [unrolled: 1-line block ×3, first 2 shown]
	v_fma_f64 v[245:246], v[213:214], s[26:27], -v[235:236]
	v_fma_f64 v[235:236], v[213:214], s[26:27], v[235:236]
	v_add_f64 v[221:222], v[130:131], v[221:222]
	v_add_f64 v[226:227], v[130:131], v[226:227]
	;; [unrolled: 1-line block ×7, first 2 shown]
	v_fma_f64 v[241:242], v[213:214], s[36:37], -v[217:218]
	v_fma_f64 v[243:244], v[213:214], s[34:35], -v[233:234]
	v_fma_f64 v[249:250], v[213:214], s[10:11], v[205:206]
	v_fma_f64 v[217:218], v[213:214], s[36:37], v[217:218]
	;; [unrolled: 1-line block ×3, first 2 shown]
	v_fma_f64 v[205:206], v[213:214], s[10:11], -v[205:206]
	v_add_f64 v[213:214], v[130:131], v[237:238]
	v_add_f64 v[130:131], v[130:131], v[215:216]
	;; [unrolled: 1-line block ×9, first 2 shown]
	v_mul_f64 v[4:5], v[184:185], s[54:55]
	v_mul_f64 v[8:9], v[190:191], s[20:21]
	v_add_f64 v[217:218], v[128:129], v[217:218]
	v_add_f64 v[233:234], v[128:129], v[233:234]
	;; [unrolled: 1-line block ×3, first 2 shown]
	v_fma_f64 v[6:7], v[194:195], s[16:17], v[4:5]
	v_fma_f64 v[4:5], v[194:195], s[16:17], -v[4:5]
	v_fma_f64 v[10:11], v[198:199], s[22:23], v[8:9]
	v_fma_f64 v[8:9], v[198:199], s[22:23], -v[8:9]
	v_add_f64 v[6:7], v[6:7], v[213:214]
	v_add_f64 v[4:5], v[4:5], v[221:222]
	;; [unrolled: 1-line block ×4, first 2 shown]
	v_mul_f64 v[8:9], v[166:167], s[52:53]
	v_mul_f64 v[10:11], v[182:183], s[54:55]
	v_fma_f64 v[213:214], v[211:212], s[26:27], v[8:9]
	v_fma_f64 v[205:206], v[192:193], s[16:17], -v[10:11]
	v_fma_f64 v[8:9], v[211:212], s[26:27], -v[8:9]
	v_add_f64 v[6:7], v[213:214], v[6:7]
	v_mul_f64 v[213:214], v[188:189], s[20:21]
	v_add_f64 v[205:206], v[205:206], v[237:238]
	v_add_f64 v[4:5], v[8:9], v[4:5]
	v_mul_f64 v[8:9], v[186:187], s[0:1]
	v_fma_f64 v[221:222], v[196:197], s[22:23], -v[213:214]
	v_add_f64 v[205:206], v[221:222], v[205:206]
	v_fma_f64 v[221:222], v[164:165], s[2:3], v[8:9]
	v_fma_f64 v[8:9], v[164:165], s[2:3], -v[8:9]
	v_add_f64 v[6:7], v[221:222], v[6:7]
	v_mul_f64 v[221:222], v[168:169], s[52:53]
	v_add_f64 v[4:5], v[8:9], v[4:5]
	v_mul_f64 v[8:9], v[180:181], s[48:49]
	v_fma_f64 v[237:238], v[209:210], s[26:27], -v[221:222]
	v_fma_f64 v[221:222], v[209:210], s[26:27], v[221:222]
	v_add_f64 v[205:206], v[237:238], v[205:206]
	v_fma_f64 v[237:238], v[178:179], s[34:35], v[8:9]
	v_fma_f64 v[8:9], v[178:179], s[34:35], -v[8:9]
	v_add_f64 v[6:7], v[237:238], v[6:7]
	v_add_f64 v[4:5], v[8:9], v[4:5]
	v_fma_f64 v[8:9], v[192:193], s[16:17], v[10:11]
	v_mul_f64 v[10:11], v[176:177], s[44:45]
	v_mul_f64 v[237:238], v[207:208], s[0:1]
	v_add_f64 v[8:9], v[8:9], v[217:218]
	v_fma_f64 v[217:218], v[150:151], s[10:11], v[10:11]
	v_fma_f64 v[251:252], v[200:201], s[2:3], -v[237:238]
	v_fma_f64 v[10:11], v[150:151], s[10:11], -v[10:11]
	v_fma_f64 v[237:238], v[200:201], s[2:3], v[237:238]
	v_add_f64 v[217:218], v[217:218], v[6:7]
	v_mul_f64 v[6:7], v[203:204], s[48:49]
	v_add_f64 v[205:206], v[251:252], v[205:206]
	s_mov_b32 s49, 0x3fc7851a
	s_mov_b32 s48, s0
	v_fma_f64 v[251:252], v[162:163], s[34:35], -v[6:7]
	v_fma_f64 v[6:7], v[162:163], s[34:35], v[6:7]
	v_add_f64 v[205:206], v[251:252], v[205:206]
	v_add_f64 v[251:252], v[10:11], v[4:5]
	v_fma_f64 v[4:5], v[196:197], s[22:23], v[213:214]
	v_mul_f64 v[213:214], v[160:161], s[44:45]
	v_add_f64 v[4:5], v[4:5], v[8:9]
	v_mul_f64 v[8:9], v[184:185], s[0:1]
	v_add_f64 v[4:5], v[221:222], v[4:5]
	v_fma_f64 v[10:11], v[194:195], s[2:3], v[8:9]
	v_fma_f64 v[8:9], v[194:195], s[2:3], -v[8:9]
	v_add_f64 v[4:5], v[237:238], v[4:5]
	v_add_f64 v[156:157], v[10:11], v[156:157]
	v_fma_f64 v[10:11], v[148:149], s[10:11], -v[213:214]
	v_add_f64 v[8:9], v[8:9], v[158:159]
	v_mul_f64 v[158:159], v[190:191], s[42:43]
	v_add_f64 v[4:5], v[6:7], v[4:5]
	v_mul_f64 v[6:7], v[182:183], s[28:29]
	;; [unrolled: 2-line block ×3, first 2 shown]
	v_fma_f64 v[221:222], v[198:199], s[36:37], v[158:159]
	v_fma_f64 v[158:159], v[198:199], s[36:37], -v[158:159]
	buffer_store_dword v10, off, s[60:63], 0 offset:64 ; 4-byte Folded Spill
	buffer_store_dword v11, off, s[60:63], 0 offset:68 ; 4-byte Folded Spill
	v_fma_f64 v[253:254], v[192:193], s[2:3], -v[205:206]
	v_fma_f64 v[205:206], v[192:193], s[2:3], v[205:206]
	v_add_f64 v[8:9], v[158:159], v[8:9]
	v_mul_f64 v[158:159], v[166:167], s[8:9]
	v_add_f64 v[156:157], v[221:222], v[156:157]
	v_mul_f64 v[221:222], v[188:189], s[42:43]
	v_add_f64 v[241:242], v[253:254], v[241:242]
	v_add_f64 v[205:206], v[205:206], v[233:234]
	v_mul_f64 v[233:234], v[184:185], s[28:29]
	v_fma_f64 v[237:238], v[211:212], s[10:11], v[158:159]
	v_fma_f64 v[158:159], v[211:212], s[10:11], -v[158:159]
	v_fma_f64 v[253:254], v[196:197], s[36:37], -v[221:222]
	v_fma_f64 v[221:222], v[196:197], s[36:37], v[221:222]
	v_add_f64 v[156:157], v[237:238], v[156:157]
	v_fma_f64 v[237:238], v[194:195], s[24:25], v[233:234]
	v_add_f64 v[241:242], v[253:254], v[241:242]
	v_fma_f64 v[233:234], v[194:195], s[24:25], -v[233:234]
	v_add_f64 v[205:206], v[221:222], v[205:206]
	v_mul_f64 v[221:222], v[190:191], s[48:49]
	v_add_f64 v[8:9], v[158:159], v[8:9]
	v_mul_f64 v[158:159], v[186:187], s[52:53]
	v_add_f64 v[170:171], v[237:238], v[170:171]
	v_mul_f64 v[237:238], v[168:169], s[8:9]
	v_add_f64 v[224:225], v[233:234], v[224:225]
	v_fma_f64 v[233:234], v[198:199], s[2:3], v[221:222]
	v_fma_f64 v[221:222], v[198:199], s[2:3], -v[221:222]
	v_fma_f64 v[253:254], v[209:210], s[10:11], -v[237:238]
	v_add_f64 v[170:171], v[233:234], v[170:171]
	v_mul_f64 v[233:234], v[207:208], s[52:53]
	v_add_f64 v[221:222], v[221:222], v[224:225]
	v_fma_f64 v[224:225], v[209:210], s[10:11], v[237:238]
	v_add_f64 v[241:242], v[253:254], v[241:242]
	v_fma_f64 v[253:254], v[192:193], s[24:25], -v[6:7]
	v_fma_f64 v[6:7], v[192:193], s[24:25], v[6:7]
	v_add_f64 v[205:206], v[224:225], v[205:206]
	v_mul_f64 v[224:225], v[166:167], s[42:43]
	v_add_f64 v[243:244], v[253:254], v[243:244]
	v_fma_f64 v[253:254], v[164:165], s[26:27], v[158:159]
	v_fma_f64 v[158:159], v[164:165], s[26:27], -v[158:159]
	v_add_f64 v[235:236], v[6:7], v[235:236]
	v_fma_f64 v[237:238], v[211:212], s[36:37], v[224:225]
	v_add_f64 v[156:157], v[253:254], v[156:157]
	v_fma_f64 v[253:254], v[200:201], s[26:27], -v[233:234]
	v_add_f64 v[8:9], v[158:159], v[8:9]
	v_mul_f64 v[158:159], v[180:181], s[18:19]
	v_add_f64 v[237:238], v[237:238], v[170:171]
	v_add_f64 v[241:242], v[253:254], v[241:242]
	v_mul_f64 v[253:254], v[188:189], s[48:49]
	v_fma_f64 v[10:11], v[196:197], s[2:3], -v[253:254]
	v_add_f64 v[10:11], v[10:11], v[243:244]
	v_fma_f64 v[243:244], v[178:179], s[16:17], v[158:159]
	v_add_f64 v[156:157], v[243:244], v[156:157]
	v_mul_f64 v[243:244], v[203:204], s[18:19]
	v_fma_f64 v[170:171], v[162:163], s[16:17], -v[243:244]
	v_add_f64 v[241:242], v[170:171], v[241:242]
	v_mul_f64 v[170:171], v[168:169], s[42:43]
	v_fma_f64 v[6:7], v[209:210], s[36:37], -v[170:171]
	v_fma_f64 v[170:171], v[209:210], s[36:37], v[170:171]
	v_add_f64 v[10:11], v[6:7], v[10:11]
	v_fma_f64 v[6:7], v[178:179], s[16:17], -v[158:159]
	v_add_f64 v[8:9], v[6:7], v[8:9]
	v_fma_f64 v[6:7], v[148:149], s[10:11], v[213:214]
	v_add_f64 v[6:7], v[6:7], v[4:5]
	v_mul_f64 v[4:5], v[176:177], s[46:47]
	v_fma_f64 v[158:159], v[150:151], s[24:25], v[4:5]
	v_fma_f64 v[4:5], v[150:151], s[24:25], -v[4:5]
	v_add_f64 v[213:214], v[158:159], v[156:157]
	v_fma_f64 v[156:157], v[211:212], s[36:37], -v[224:225]
	v_fma_f64 v[158:159], v[200:201], s[26:27], v[233:234]
	v_mul_f64 v[233:234], v[160:161], s[46:47]
	v_add_f64 v[156:157], v[156:157], v[221:222]
	v_mul_f64 v[221:222], v[186:187], s[20:21]
	v_add_f64 v[158:159], v[158:159], v[205:206]
	v_fma_f64 v[205:206], v[164:165], s[22:23], v[221:222]
	v_add_f64 v[224:225], v[205:206], v[237:238]
	v_fma_f64 v[237:238], v[196:197], s[2:3], v[253:254]
	v_fma_f64 v[205:206], v[148:149], s[24:25], -v[233:234]
	v_add_f64 v[235:236], v[237:238], v[235:236]
	v_mul_f64 v[237:238], v[207:208], s[20:21]
	v_add_f64 v[205:206], v[205:206], v[241:242]
	v_add_f64 v[170:171], v[170:171], v[235:236]
	v_fma_f64 v[241:242], v[200:201], s[22:23], -v[237:238]
	v_add_f64 v[10:11], v[241:242], v[10:11]
	v_add_f64 v[241:242], v[4:5], v[8:9]
	v_fma_f64 v[4:5], v[164:165], s[22:23], -v[221:222]
	v_fma_f64 v[8:9], v[162:163], s[16:17], v[243:244]
	v_mul_f64 v[221:222], v[203:204], s[44:45]
	v_add_f64 v[4:5], v[4:5], v[156:157]
	v_add_f64 v[156:157], v[8:9], v[158:159]
	v_mul_f64 v[8:9], v[180:181], s[44:45]
	v_fma_f64 v[158:159], v[178:179], s[10:11], v[8:9]
	v_fma_f64 v[8:9], v[178:179], s[10:11], -v[8:9]
	v_add_f64 v[158:159], v[158:159], v[224:225]
	v_add_f64 v[4:5], v[8:9], v[4:5]
	v_fma_f64 v[8:9], v[200:201], s[22:23], v[237:238]
	v_fma_f64 v[224:225], v[162:163], s[10:11], -v[221:222]
	v_fma_f64 v[221:222], v[162:163], s[10:11], v[221:222]
	v_add_f64 v[8:9], v[8:9], v[170:171]
	v_mul_f64 v[170:171], v[184:185], s[40:41]
	v_add_f64 v[10:11], v[224:225], v[10:11]
	v_mul_f64 v[184:185], v[184:185], s[50:51]
	v_add_f64 v[221:222], v[221:222], v[8:9]
	v_fma_f64 v[224:225], v[194:195], s[34:35], -v[170:171]
	v_fma_f64 v[170:171], v[194:195], s[34:35], v[170:171]
	v_add_f64 v[224:225], v[224:225], v[226:227]
	v_fma_f64 v[226:227], v[194:195], s[22:23], -v[184:185]
	v_fma_f64 v[184:185], v[194:195], s[22:23], v[184:185]
	v_mul_f64 v[194:195], v[182:183], s[40:41]
	v_mul_f64 v[182:183], v[182:183], s[50:51]
	v_add_f64 v[170:171], v[170:171], v[231:232]
	v_mul_f64 v[231:232], v[190:191], s[28:29]
	v_mul_f64 v[190:191], v[190:191], s[52:53]
	v_add_f64 v[130:131], v[184:185], v[130:131]
	v_fma_f64 v[235:236], v[192:193], s[34:35], v[194:195]
	v_fma_f64 v[194:195], v[192:193], s[34:35], -v[194:195]
	v_fma_f64 v[237:238], v[192:193], s[22:23], v[182:183]
	v_fma_f64 v[182:183], v[192:193], s[22:23], -v[182:183]
	v_add_f64 v[192:193], v[226:227], v[229:230]
	v_mul_f64 v[184:185], v[188:189], s[28:29]
	v_mul_f64 v[188:189], v[188:189], s[52:53]
	v_add_f64 v[229:230], v[235:236], v[247:248]
	v_fma_f64 v[235:236], v[198:199], s[24:25], -v[231:232]
	v_add_f64 v[194:195], v[194:195], v[239:240]
	v_fma_f64 v[231:232], v[198:199], s[24:25], v[231:232]
	v_add_f64 v[226:227], v[237:238], v[245:246]
	v_add_f64 v[128:129], v[182:183], v[128:129]
	v_fma_f64 v[237:238], v[196:197], s[26:27], v[188:189]
	v_fma_f64 v[188:189], v[196:197], s[26:27], -v[188:189]
	v_add_f64 v[224:225], v[235:236], v[224:225]
	v_fma_f64 v[235:236], v[198:199], s[26:27], -v[190:191]
	v_fma_f64 v[190:191], v[198:199], s[26:27], v[190:191]
	v_fma_f64 v[198:199], v[196:197], s[24:25], v[184:185]
	v_fma_f64 v[184:185], v[196:197], s[24:25], -v[184:185]
	v_add_f64 v[170:171], v[231:232], v[170:171]
	v_add_f64 v[128:129], v[188:189], v[128:129]
	v_mul_f64 v[188:189], v[186:187], s[54:55]
	v_mul_f64 v[186:187], v[186:187], s[38:39]
	v_add_f64 v[182:183], v[235:236], v[192:193]
	v_add_f64 v[130:131], v[190:191], v[130:131]
	;; [unrolled: 1-line block ×4, first 2 shown]
	v_mul_f64 v[194:195], v[166:167], s[0:1]
	v_mul_f64 v[166:167], v[166:167], s[40:41]
	;; [unrolled: 1-line block ×4, first 2 shown]
	v_add_f64 v[192:193], v[237:238], v[226:227]
	v_mul_f64 v[235:236], v[154:155], s[0:1]
	v_fma_f64 v[198:199], v[211:212], s[2:3], -v[194:195]
	v_fma_f64 v[194:195], v[211:212], s[2:3], v[194:195]
	v_fma_f64 v[226:227], v[209:210], s[34:35], v[168:169]
	v_fma_f64 v[168:169], v[209:210], s[34:35], -v[168:169]
	v_add_f64 v[198:199], v[198:199], v[224:225]
	v_fma_f64 v[224:225], v[211:212], s[34:35], -v[166:167]
	v_fma_f64 v[166:167], v[211:212], s[34:35], v[166:167]
	v_fma_f64 v[211:212], v[209:210], s[2:3], v[190:191]
	v_fma_f64 v[190:191], v[209:210], s[2:3], -v[190:191]
	v_fma_f64 v[209:210], v[164:165], s[16:17], -v[188:189]
	v_add_f64 v[170:171], v[194:195], v[170:171]
	v_mul_f64 v[194:195], v[180:181], s[42:43]
	v_fma_f64 v[188:189], v[164:165], s[16:17], v[188:189]
	v_mul_f64 v[180:181], v[180:181], s[28:29]
	v_add_f64 v[192:193], v[226:227], v[192:193]
	v_add_f64 v[128:129], v[168:169], v[128:129]
	v_mul_f64 v[168:169], v[176:177], s[40:41]
	v_mul_f64 v[226:227], v[154:155], s[18:19]
	v_add_f64 v[182:183], v[224:225], v[182:183]
	v_add_f64 v[130:131], v[166:167], v[130:131]
	;; [unrolled: 1-line block ×3, first 2 shown]
	v_mul_f64 v[211:212], v[207:208], s[38:39]
	v_mul_f64 v[207:208], v[207:208], s[54:55]
	v_add_f64 v[184:185], v[190:191], v[184:185]
	v_fma_f64 v[190:191], v[164:165], s[36:37], -v[186:187]
	v_fma_f64 v[164:165], v[164:165], s[36:37], v[186:187]
	v_add_f64 v[198:199], v[209:210], v[198:199]
	v_mul_f64 v[166:167], v[203:204], s[42:43]
	v_mul_f64 v[203:204], v[203:204], s[28:29]
	v_add_f64 v[170:171], v[188:189], v[170:171]
	v_fma_f64 v[224:225], v[148:149], s[24:25], v[233:234]
	v_mul_f64 v[233:234], v[174:175], s[0:1]
	v_fma_f64 v[239:240], v[152:153], s[16:17], v[226:227]
	v_fma_f64 v[209:210], v[200:201], s[36:37], v[211:212]
	v_fma_f64 v[186:187], v[200:201], s[16:17], v[207:208]
	v_fma_f64 v[207:208], v[200:201], s[16:17], -v[207:208]
	v_fma_f64 v[200:201], v[200:201], s[36:37], -v[211:212]
	;; [unrolled: 1-line block ×3, first 2 shown]
	v_add_f64 v[182:183], v[190:191], v[182:183]
	v_mul_f64 v[190:191], v[176:177], s[30:31]
	v_fma_f64 v[194:195], v[178:179], s[36:37], v[194:195]
	v_fma_f64 v[188:189], v[162:163], s[24:25], v[203:204]
	v_mul_f64 v[176:177], v[176:177], s[18:19]
	v_add_f64 v[130:131], v[164:165], v[130:131]
	v_mul_f64 v[164:165], v[160:161], s[18:19]
	v_add_f64 v[192:193], v[209:210], v[192:193]
	v_add_f64 v[186:187], v[186:187], v[196:197]
	v_fma_f64 v[196:197], v[178:179], s[24:25], -v[180:181]
	v_fma_f64 v[178:179], v[178:179], s[24:25], v[180:181]
	v_mul_f64 v[180:181], v[160:161], s[40:41]
	v_mul_f64 v[209:210], v[174:175], s[28:29]
	v_add_f64 v[184:185], v[207:208], v[184:185]
	v_fma_f64 v[207:208], v[162:163], s[36:37], v[166:167]
	v_add_f64 v[198:199], v[211:212], v[198:199]
	v_fma_f64 v[166:167], v[162:163], s[36:37], -v[166:167]
	v_fma_f64 v[162:163], v[162:163], s[24:25], -v[203:204]
	;; [unrolled: 1-line block ×3, first 2 shown]
	v_mul_f64 v[160:161], v[160:161], s[30:31]
	v_add_f64 v[128:129], v[200:201], v[128:129]
	v_fma_f64 v[211:212], v[150:151], s[34:35], -v[168:169]
	v_fma_f64 v[168:169], v[150:151], s[34:35], v[168:169]
	v_add_f64 v[170:171], v[194:195], v[170:171]
	v_fma_f64 v[231:232], v[150:151], s[16:17], -v[176:177]
	v_fma_f64 v[190:191], v[150:151], s[26:27], v[190:191]
	v_fma_f64 v[150:151], v[150:151], s[16:17], v[176:177]
	v_mul_f64 v[176:177], v[174:175], s[8:9]
	v_add_f64 v[188:189], v[188:189], v[192:193]
	v_mul_f64 v[192:193], v[174:175], s[20:21]
	v_add_f64 v[182:183], v[196:197], v[182:183]
	v_add_f64 v[130:131], v[178:179], v[130:131]
	v_fma_f64 v[229:230], v[148:149], s[34:35], -v[180:181]
	v_fma_f64 v[180:181], v[148:149], s[34:35], v[180:181]
	v_fma_f64 v[200:201], v[172:173], s[24:25], v[209:210]
	v_fma_f64 v[209:210], v[172:173], s[24:25], -v[209:210]
	v_add_f64 v[186:187], v[207:208], v[186:187]
	v_mul_f64 v[207:208], v[174:175], s[18:19]
	v_add_f64 v[166:167], v[166:167], v[184:185]
	v_fma_f64 v[184:185], v[148:149], s[16:17], v[164:165]
	v_add_f64 v[203:204], v[203:204], v[198:199]
	v_fma_f64 v[198:199], v[148:149], s[26:27], v[160:161]
	v_fma_f64 v[160:161], v[148:149], s[26:27], -v[160:161]
	v_fma_f64 v[148:149], v[148:149], s[16:17], -v[164:165]
	v_mul_f64 v[164:165], v[154:155], s[8:9]
	v_add_f64 v[162:163], v[162:163], v[128:129]
	v_add_f64 v[211:212], v[211:212], v[4:5]
	;; [unrolled: 1-line block ×3, first 2 shown]
	v_fma_f64 v[243:244], v[172:173], s[10:11], -v[176:177]
	v_fma_f64 v[156:157], v[172:173], s[2:3], -v[233:234]
	v_add_f64 v[174:175], v[190:191], v[170:171]
	v_fma_f64 v[190:191], v[172:173], s[22:23], v[192:193]
	v_fma_f64 v[176:177], v[172:173], s[10:11], v[176:177]
	v_mul_f64 v[196:197], v[154:155], s[28:29]
	v_mul_f64 v[154:155], v[154:155], s[20:21]
	v_add_f64 v[221:222], v[180:181], v[221:222]
	v_add_f64 v[4:5], v[200:201], v[217:218]
	;; [unrolled: 1-line block ×4, first 2 shown]
	v_fma_f64 v[209:210], v[172:173], s[22:23], -v[192:193]
	v_fma_f64 v[231:232], v[172:173], s[16:17], -v[207:208]
	v_add_f64 v[217:218], v[184:185], v[188:189]
	v_add_f64 v[184:185], v[229:230], v[10:11]
	;; [unrolled: 1-line block ×3, first 2 shown]
	v_fma_f64 v[186:187], v[172:173], s[16:17], v[207:208]
	v_add_f64 v[180:181], v[160:161], v[166:167]
	v_fma_f64 v[10:11], v[152:153], s[10:11], v[164:165]
	v_fma_f64 v[178:179], v[152:153], s[10:11], -v[164:165]
	v_fma_f64 v[164:165], v[172:173], s[2:3], v[233:234]
	v_add_f64 v[172:173], v[148:149], v[162:163]
	v_add_f64 v[160:161], v[0:1], v[249:250]
	;; [unrolled: 1-line block ×3, first 2 shown]
	v_fma_f64 v[224:225], v[152:153], s[2:3], v[235:236]
	v_add_f64 v[182:183], v[168:169], v[158:159]
	v_fma_f64 v[188:189], v[152:153], s[16:17], -v[226:227]
	v_fma_f64 v[194:195], v[152:153], s[24:25], -v[196:197]
	v_fma_f64 v[198:199], v[152:153], s[22:23], v[154:155]
	v_add_f64 v[148:149], v[239:240], v[221:222]
	s_clause 0x3
	buffer_load_dword v222, off, s[60:63], 0 offset:56
	buffer_load_dword v221, off, s[60:63], 0 offset:48
	;; [unrolled: 1-line block ×4, first 2 shown]
	v_fma_f64 v[196:197], v[152:153], s[24:25], v[196:197]
	v_fma_f64 v[192:193], v[152:153], s[22:23], -v[154:155]
	v_add_f64 v[166:167], v[150:151], v[130:131]
	v_fma_f64 v[168:169], v[152:153], s[2:3], -v[235:236]
	v_add_f64 v[158:159], v[156:157], v[200:201]
	v_add_f64 v[154:155], v[243:244], v[203:204]
	v_add_f64 v[150:151], v[231:232], v[211:212]
	v_add_f64 v[130:131], v[209:210], v[241:242]
	v_add_f64 v[152:153], v[10:11], v[237:238]
	v_add_f64 v[176:177], v[176:177], v[174:175]
	v_add_f64 v[174:175], v[178:179], v[180:181]
	v_add_f64 v[156:157], v[224:225], v[217:218]
	v_add_f64 v[186:187], v[186:187], v[182:183]
	v_add_f64 v[184:185], v[188:189], v[184:185]
	v_add_f64 v[128:129], v[198:199], v[128:129]
	v_add_f64 v[6:7], v[196:197], v[6:7]
	v_add_f64 v[192:193], v[192:193], v[205:206]
	v_add_f64 v[166:167], v[164:165], v[166:167]
	v_add_f64 v[164:165], v[168:169], v[172:173]
	s_waitcnt vmcnt(0)
	v_add_f64 v[2:3], v[194:195], v[0:1]
	buffer_load_dword v1, off, s[60:63], 0 offset:8 ; 4-byte Folded Reload
	v_mul_lo_u16 v0, v255, 17
	v_add_f64 v[194:195], v[190:191], v[213:214]
	v_and_b32_e32 v0, 0xffff, v0
	s_waitcnt vmcnt(0)
	v_lshl_add_u32 v0, v0, 4, v1
	ds_write_b128 v0, v[160:163]
	ds_write_b128 v0, v[156:159] offset:16
	ds_write_b128 v0, v[152:155] offset:32
	;; [unrolled: 1-line block ×16, first 2 shown]
.LBB0_13:
	s_or_b32 exec_lo, exec_lo, s33
	s_waitcnt lgkmcnt(0)
	s_waitcnt_vscnt null, 0x0
	s_barrier
	buffer_gl0_inv
	ds_read_b128 v[0:3], v219 offset:6528
	ds_read_b128 v[4:7], v219 offset:13056
	;; [unrolled: 1-line block ×8, first 2 shown]
	s_mov_b32 s0, 0xe8584caa
	s_mov_b32 s1, 0xbfebb67a
	;; [unrolled: 1-line block ×4, first 2 shown]
	s_waitcnt lgkmcnt(7)
	v_mul_f64 v[140:141], v[38:39], v[2:3]
	v_mul_f64 v[38:39], v[38:39], v[0:1]
	s_waitcnt lgkmcnt(6)
	v_mul_f64 v[142:143], v[26:27], v[6:7]
	v_mul_f64 v[26:27], v[26:27], v[4:5]
	;; [unrolled: 3-line block ×6, first 2 shown]
	s_waitcnt lgkmcnt(1)
	v_mul_f64 v[152:153], v[50:51], v[134:135]
	s_waitcnt lgkmcnt(0)
	v_mul_f64 v[154:155], v[46:47], v[138:139]
	v_mul_f64 v[50:51], v[50:51], v[132:133]
	;; [unrolled: 1-line block ×3, first 2 shown]
	v_fma_f64 v[140:141], v[36:37], v[0:1], v[140:141]
	v_fma_f64 v[36:37], v[36:37], v[2:3], -v[38:39]
	v_fma_f64 v[38:39], v[24:25], v[4:5], v[142:143]
	v_fma_f64 v[24:25], v[24:25], v[6:7], -v[26:27]
	;; [unrolled: 2-line block ×6, first 2 shown]
	v_fma_f64 v[22:23], v[48:49], v[132:133], v[152:153]
	v_fma_f64 v[32:33], v[44:45], v[136:137], v[154:155]
	v_fma_f64 v[34:35], v[48:49], v[134:135], -v[50:51]
	v_fma_f64 v[44:45], v[44:45], v[138:139], -v[46:47]
	ds_read_b128 v[0:3], v219
	ds_read_b128 v[4:7], v219 offset:1632
	ds_read_b128 v[8:11], v219 offset:3264
	;; [unrolled: 1-line block ×3, first 2 shown]
	s_waitcnt lgkmcnt(0)
	s_barrier
	buffer_gl0_inv
	v_add_f64 v[46:47], v[140:141], v[38:39]
	v_add_f64 v[48:49], v[36:37], v[24:25]
	v_add_f64 v[136:137], v[36:37], -v[24:25]
	v_add_f64 v[50:51], v[26:27], v[42:43]
	v_add_f64 v[156:157], v[26:27], -v[42:43]
	v_add_f64 v[128:129], v[40:41], v[28:29]
	v_add_f64 v[130:131], v[16:17], v[30:31]
	v_add_f64 v[134:135], v[18:19], v[20:21]
	v_add_f64 v[158:159], v[16:17], -v[30:31]
	v_add_f64 v[144:145], v[4:5], v[26:27]
	v_add_f64 v[132:133], v[0:1], v[140:141]
	;; [unrolled: 4-line block ×3, first 2 shown]
	v_add_f64 v[138:139], v[22:23], v[32:33]
	v_add_f64 v[152:153], v[12:13], v[22:23]
	v_add_f64 v[162:163], v[22:23], -v[32:33]
	v_add_f64 v[146:147], v[6:7], v[40:41]
	v_add_f64 v[40:41], v[40:41], -v[28:29]
	v_fma_f64 v[46:47], v[46:47], -0.5, v[0:1]
	v_fma_f64 v[48:49], v[48:49], -0.5, v[2:3]
	v_add_f64 v[142:143], v[34:35], v[44:45]
	v_add_f64 v[154:155], v[14:15], v[34:35]
	v_fma_f64 v[26:27], v[50:51], -0.5, v[4:5]
	v_add_f64 v[50:51], v[18:19], -v[20:21]
	v_fma_f64 v[128:129], v[128:129], -0.5, v[6:7]
	v_add_f64 v[160:161], v[34:35], -v[44:45]
	v_fma_f64 v[130:131], v[130:131], -0.5, v[8:9]
	v_fma_f64 v[134:135], v[134:135], -0.5, v[10:11]
	v_add_f64 v[4:5], v[144:145], v[42:43]
	v_add_f64 v[0:1], v[132:133], v[38:39]
	;; [unrolled: 1-line block ×5, first 2 shown]
	v_fma_f64 v[138:139], v[138:139], -0.5, v[12:13]
	v_add_f64 v[12:13], v[152:153], v[32:33]
	v_add_f64 v[6:7], v[146:147], v[28:29]
	v_fma_f64 v[16:17], v[136:137], s[0:1], v[46:47]
	v_fma_f64 v[18:19], v[140:141], s[2:3], v[48:49]
	;; [unrolled: 1-line block ×8, first 2 shown]
	v_fma_f64 v[132:133], v[142:143], -0.5, v[14:15]
	v_fma_f64 v[32:33], v[50:51], s[0:1], v[130:131]
	v_fma_f64 v[34:35], v[158:159], s[2:3], v[134:135]
	;; [unrolled: 1-line block ×4, first 2 shown]
	v_add_f64 v[14:15], v[154:155], v[44:45]
	ds_write_b128 v221, v[0:3]
	ds_write_b128 v221, v[16:19] offset:272
	ds_write_b128 v221, v[20:23] offset:544
	buffer_load_dword v0, off, s[60:63], 0 offset:20 ; 4-byte Folded Reload
	v_fma_f64 v[40:41], v[160:161], s[0:1], v[138:139]
	v_fma_f64 v[44:45], v[160:161], s[2:3], v[138:139]
	s_waitcnt vmcnt(0)
	ds_write_b128 v0, v[4:7]
	ds_write_b128 v0, v[24:27] offset:272
	ds_write_b128 v0, v[28:31] offset:544
	buffer_load_dword v0, off, s[60:63], 0 offset:12 ; 4-byte Folded Reload
	v_fma_f64 v[42:43], v[162:163], s[2:3], v[132:133]
	v_fma_f64 v[46:47], v[162:163], s[0:1], v[132:133]
	s_waitcnt vmcnt(0)
	ds_write_b128 v0, v[8:11]
	ds_write_b128 v0, v[32:35] offset:272
	ds_write_b128 v0, v[36:39] offset:544
	ds_write_b128 v222, v[12:15]
	ds_write_b128 v222, v[40:43] offset:272
	ds_write_b128 v222, v[44:47] offset:544
	s_waitcnt lgkmcnt(0)
	s_barrier
	buffer_gl0_inv
	ds_read_b128 v[0:3], v219 offset:4896
	ds_read_b128 v[4:7], v219 offset:9792
	;; [unrolled: 1-line block ×10, first 2 shown]
	ds_read_b128 v[40:43], v219
	ds_read_b128 v[44:47], v219 offset:1632
	s_waitcnt lgkmcnt(0)
	s_barrier
	buffer_gl0_inv
	v_mul_f64 v[48:49], v[74:75], v[2:3]
	v_mul_f64 v[50:51], v[74:75], v[0:1]
	;; [unrolled: 1-line block ×18, first 2 shown]
	v_fma_f64 v[0:1], v[72:73], v[0:1], v[48:49]
	v_fma_f64 v[2:3], v[72:73], v[2:3], -v[50:51]
	v_fma_f64 v[4:5], v[68:69], v[4:5], v[74:75]
	v_fma_f64 v[6:7], v[68:69], v[6:7], -v[70:71]
	;; [unrolled: 2-line block ×3, first 2 shown]
	v_fma_f64 v[12:13], v[56:57], v[12:13], v[130:131]
	v_fma_f64 v[16:17], v[64:65], v[16:17], v[132:133]
	v_fma_f64 v[18:19], v[64:65], v[18:19], -v[66:67]
	v_fma_f64 v[20:21], v[52:53], v[20:21], v[134:135]
	v_fma_f64 v[24:25], v[84:85], v[24:25], v[136:137]
	v_fma_f64 v[26:27], v[84:85], v[26:27], -v[86:87]
	v_fma_f64 v[28:29], v[80:81], v[28:29], v[138:139]
	v_fma_f64 v[30:31], v[80:81], v[30:31], -v[82:83]
	;; [unrolled: 2-line block ×3, first 2 shown]
	v_fma_f64 v[14:15], v[56:57], v[14:15], -v[58:59]
	v_fma_f64 v[22:23], v[52:53], v[22:23], -v[54:55]
	v_add_f64 v[48:49], v[40:41], -v[4:5]
	v_add_f64 v[50:51], v[42:43], -v[6:7]
	;; [unrolled: 1-line block ×12, first 2 shown]
	v_fma_f64 v[30:31], v[40:41], 2.0, -v[48:49]
	v_fma_f64 v[34:35], v[42:43], 2.0, -v[50:51]
	v_fma_f64 v[10:11], v[0:1], 2.0, -v[4:5]
	v_fma_f64 v[22:23], v[2:3], 2.0, -v[6:7]
	v_add_f64 v[0:1], v[48:49], v[6:7]
	v_fma_f64 v[40:41], v[44:45], 2.0, -v[52:53]
	v_fma_f64 v[42:43], v[46:47], 2.0, -v[54:55]
	v_add_f64 v[2:3], v[50:51], -v[4:5]
	v_fma_f64 v[12:13], v[12:13], 2.0, -v[16:17]
	v_add_f64 v[6:7], v[54:55], -v[16:17]
	v_fma_f64 v[44:45], v[36:37], 2.0, -v[56:57]
	v_fma_f64 v[46:47], v[38:39], 2.0, -v[58:59]
	v_fma_f64 v[24:25], v[24:25], 2.0, -v[18:19]
	v_fma_f64 v[26:27], v[26:27], 2.0, -v[20:21]
	v_add_f64 v[16:17], v[56:57], v[20:21]
	v_fma_f64 v[14:15], v[14:15], 2.0, -v[8:9]
	v_add_f64 v[4:5], v[52:53], v[8:9]
	v_add_f64 v[18:19], v[58:59], -v[18:19]
	v_add_f64 v[8:9], v[30:31], -v[10:11]
	;; [unrolled: 1-line block ×6, first 2 shown]
	v_fma_f64 v[24:25], v[48:49], 2.0, -v[0:1]
	v_fma_f64 v[26:27], v[50:51], 2.0, -v[2:3]
	v_add_f64 v[14:15], v[42:43], -v[14:15]
	v_fma_f64 v[28:29], v[52:53], 2.0, -v[4:5]
	v_fma_f64 v[32:33], v[30:31], 2.0, -v[8:9]
	;; [unrolled: 1-line block ×4, first 2 shown]
	ds_write_b128 v228, v[0:3] offset:2448
	ds_write_b128 v228, v[24:27] offset:816
	ds_write_b128 v228, v[8:11] offset:1632
	ds_write_b128 v228, v[32:35]
	buffer_load_dword v0, off, s[60:63], 0 offset:36 ; 4-byte Folded Reload
	v_fma_f64 v[36:37], v[40:41], 2.0, -v[12:13]
	v_fma_f64 v[38:39], v[42:43], 2.0, -v[14:15]
	;; [unrolled: 1-line block ×6, first 2 shown]
	s_waitcnt vmcnt(0)
	ds_write_b128 v0, v[36:39]
	ds_write_b128 v0, v[28:31] offset:816
	ds_write_b128 v0, v[12:15] offset:1632
	;; [unrolled: 1-line block ×3, first 2 shown]
	buffer_load_dword v0, off, s[60:63], 0 offset:28 ; 4-byte Folded Reload
	s_waitcnt vmcnt(0)
	ds_write_b128 v0, v[44:47]
	ds_write_b128 v0, v[40:43] offset:816
	ds_write_b128 v0, v[20:23] offset:1632
	;; [unrolled: 1-line block ×3, first 2 shown]
	s_waitcnt lgkmcnt(0)
	s_barrier
	buffer_gl0_inv
	ds_read_b128 v[0:3], v219 offset:9792
	ds_read_b128 v[4:7], v219 offset:16320
	;; [unrolled: 1-line block ×8, first 2 shown]
	s_waitcnt lgkmcnt(7)
	v_mul_f64 v[32:33], v[94:95], v[0:1]
	s_waitcnt lgkmcnt(6)
	v_mul_f64 v[34:35], v[122:123], v[4:5]
	;; [unrolled: 2-line block ×5, first 2 shown]
	v_mul_f64 v[46:47], v[94:95], v[2:3]
	v_mul_f64 v[48:49], v[122:123], v[6:7]
	;; [unrolled: 1-line block ×3, first 2 shown]
	s_waitcnt lgkmcnt(0)
	v_mul_f64 v[56:57], v[110:111], v[30:31]
	v_mul_f64 v[58:59], v[110:111], v[28:29]
	;; [unrolled: 1-line block ×4, first 2 shown]
	v_fma_f64 v[50:51], v[92:93], v[2:3], -v[32:33]
	v_fma_f64 v[52:53], v[120:121], v[6:7], -v[34:35]
	v_mul_f64 v[2:3], v[90:91], v[20:21]
	v_mul_f64 v[6:7], v[118:119], v[10:11]
	v_fma_f64 v[10:11], v[116:117], v[10:11], -v[40:41]
	v_fma_f64 v[14:15], v[124:125], v[14:15], -v[42:43]
	ds_read_b128 v[32:35], v219 offset:8160
	ds_read_b128 v[36:39], v219 offset:14688
	v_mul_f64 v[40:41], v[114:115], v[26:27]
	v_mul_f64 v[42:43], v[114:115], v[24:25]
	v_fma_f64 v[46:47], v[92:93], v[0:1], v[46:47]
	v_fma_f64 v[48:49], v[120:121], v[4:5], v[48:49]
	v_fma_f64 v[18:19], v[104:105], v[18:19], -v[44:45]
	v_fma_f64 v[12:13], v[124:125], v[12:13], v[54:55]
	v_fma_f64 v[28:29], v[108:109], v[28:29], v[56:57]
	v_fma_f64 v[30:31], v[108:109], v[30:31], -v[58:59]
	v_fma_f64 v[16:17], v[104:105], v[16:17], v[60:61]
	v_fma_f64 v[20:21], v[88:89], v[20:21], v[62:63]
	v_add_f64 v[4:5], v[50:51], v[52:53]
	v_fma_f64 v[22:23], v[88:89], v[22:23], -v[2:3]
	s_waitcnt lgkmcnt(1)
	v_mul_f64 v[44:45], v[102:103], v[34:35]
	v_mul_f64 v[64:65], v[102:103], v[32:33]
	s_waitcnt lgkmcnt(0)
	v_mul_f64 v[66:67], v[98:99], v[38:39]
	v_mul_f64 v[68:69], v[98:99], v[36:37]
	v_fma_f64 v[8:9], v[116:117], v[8:9], v[6:7]
	v_add_f64 v[6:7], v[10:11], v[14:15]
	v_fma_f64 v[24:25], v[112:113], v[24:25], v[40:41]
	v_fma_f64 v[26:27], v[112:113], v[26:27], -v[42:43]
	v_add_f64 v[40:41], v[46:47], v[48:49]
	v_add_f64 v[42:43], v[46:47], -v[48:49]
	ds_read_b128 v[0:3], v219
	v_add_f64 v[72:73], v[10:11], -v[14:15]
	v_fma_f64 v[54:55], v[4:5], -0.5, v[18:19]
	v_add_f64 v[18:19], v[18:19], v[50:51]
	v_fma_f64 v[32:33], v[100:101], v[32:33], v[44:45]
	v_fma_f64 v[34:35], v[100:101], v[34:35], -v[64:65]
	v_fma_f64 v[36:37], v[96:97], v[36:37], v[66:67]
	v_fma_f64 v[38:39], v[96:97], v[38:39], -v[68:69]
	v_add_f64 v[44:45], v[8:9], v[12:13]
	v_add_f64 v[56:57], v[8:9], -v[12:13]
	v_fma_f64 v[58:59], v[6:7], -0.5, v[22:23]
	ds_read_b128 v[4:7], v219 offset:1632
	s_waitcnt lgkmcnt(1)
	v_add_f64 v[60:61], v[0:1], v[24:25]
	v_add_f64 v[62:63], v[24:25], v[28:29]
	v_add_f64 v[64:65], v[26:27], -v[30:31]
	v_add_f64 v[66:67], v[2:3], v[26:27]
	v_add_f64 v[26:27], v[26:27], v[30:31]
	v_add_f64 v[68:69], v[50:51], -v[52:53]
	v_fma_f64 v[40:41], v[40:41], -0.5, v[16:17]
	v_add_f64 v[16:17], v[16:17], v[46:47]
	v_add_f64 v[8:9], v[20:21], v[8:9]
	;; [unrolled: 1-line block ×3, first 2 shown]
	v_add_f64 v[24:25], v[24:25], -v[28:29]
	v_fma_f64 v[70:71], v[42:43], s[2:3], v[54:55]
	v_fma_f64 v[42:43], v[42:43], s[0:1], v[54:55]
	v_add_f64 v[18:19], v[18:19], v[52:53]
	v_add_f64 v[46:47], v[32:33], v[36:37]
	;; [unrolled: 1-line block ×3, first 2 shown]
	v_fma_f64 v[44:45], v[44:45], -0.5, v[20:21]
	v_add_f64 v[74:75], v[34:35], -v[38:39]
	v_fma_f64 v[50:51], v[56:57], s[2:3], v[58:59]
	v_fma_f64 v[56:57], v[56:57], s[0:1], v[58:59]
	s_waitcnt lgkmcnt(0)
	v_add_f64 v[58:59], v[4:5], v[32:33]
	v_add_f64 v[34:35], v[6:7], v[34:35]
	v_add_f64 v[20:21], v[60:61], v[28:29]
	v_fma_f64 v[0:1], v[62:63], -0.5, v[0:1]
	v_add_f64 v[22:23], v[66:67], v[30:31]
	v_fma_f64 v[2:3], v[26:27], -0.5, v[2:3]
	v_fma_f64 v[26:27], v[68:69], s[0:1], v[40:41]
	v_fma_f64 v[28:29], v[68:69], s[2:3], v[40:41]
	v_add_f64 v[32:33], v[32:33], -v[36:37]
	v_add_f64 v[16:17], v[16:17], v[48:49]
	v_add_f64 v[12:13], v[8:9], v[12:13]
	;; [unrolled: 1-line block ×3, first 2 shown]
	v_mul_f64 v[30:31], v[70:71], s[0:1]
	v_mul_f64 v[60:61], v[70:71], 0.5
	v_mul_f64 v[40:41], v[42:43], s[0:1]
	v_mul_f64 v[42:43], v[42:43], -0.5
	v_fma_f64 v[4:5], v[46:47], -0.5, v[4:5]
	v_fma_f64 v[6:7], v[54:55], -0.5, v[6:7]
	v_fma_f64 v[46:47], v[72:73], s[0:1], v[44:45]
	v_fma_f64 v[44:45], v[72:73], s[2:3], v[44:45]
	v_mul_f64 v[54:55], v[50:51], s[0:1]
	v_mul_f64 v[50:51], v[50:51], 0.5
	v_mul_f64 v[62:63], v[56:57], s[0:1]
	v_mul_f64 v[56:57], v[56:57], -0.5
	v_add_f64 v[36:37], v[58:59], v[36:37]
	v_add_f64 v[34:35], v[34:35], v[38:39]
	v_fma_f64 v[38:39], v[64:65], s[0:1], v[0:1]
	v_fma_f64 v[52:53], v[24:25], s[2:3], v[2:3]
	;; [unrolled: 1-line block ×4, first 2 shown]
	v_add_f64 v[2:3], v[22:23], v[18:19]
	v_add_f64 v[0:1], v[20:21], v[16:17]
	v_fma_f64 v[24:25], v[26:27], 0.5, v[30:31]
	v_fma_f64 v[26:27], v[26:27], s[2:3], v[60:61]
	v_fma_f64 v[30:31], v[28:29], -0.5, v[40:41]
	v_fma_f64 v[40:41], v[28:29], s[2:3], v[42:43]
	v_fma_f64 v[42:43], v[74:75], s[0:1], v[4:5]
	;; [unrolled: 1-line block ×5, first 2 shown]
	v_fma_f64 v[54:55], v[46:47], 0.5, v[54:55]
	v_fma_f64 v[46:47], v[46:47], s[2:3], v[50:51]
	v_fma_f64 v[62:63], v[44:45], -0.5, v[62:63]
	v_fma_f64 v[50:51], v[44:45], s[2:3], v[56:57]
	v_add_f64 v[4:5], v[20:21], -v[16:17]
	v_add_f64 v[6:7], v[22:23], -v[18:19]
	v_add_f64 v[8:9], v[36:37], v[12:13]
	v_add_f64 v[10:11], v[34:35], v[14:15]
	v_add_f64 v[12:13], v[36:37], -v[12:13]
	v_add_f64 v[14:15], v[34:35], -v[14:15]
	v_add_f64 v[16:17], v[38:39], v[24:25]
	v_add_f64 v[18:19], v[52:53], v[26:27]
	;; [unrolled: 1-line block ×4, first 2 shown]
	v_add_f64 v[24:25], v[38:39], -v[24:25]
	v_add_f64 v[26:27], v[52:53], -v[26:27]
	;; [unrolled: 1-line block ×4, first 2 shown]
	v_add_f64 v[32:33], v[42:43], v[54:55]
	v_add_f64 v[34:35], v[64:65], v[46:47]
	;; [unrolled: 1-line block ×4, first 2 shown]
	v_add_f64 v[40:41], v[42:43], -v[54:55]
	v_add_f64 v[42:43], v[64:65], -v[46:47]
	;; [unrolled: 1-line block ×4, first 2 shown]
	ds_write_b128 v223, v[0:3]
	ds_write_b128 v220, v[4:7] offset:9792
	ds_write_b128 v220, v[8:11] offset:1632
	;; [unrolled: 1-line block ×11, first 2 shown]
	s_waitcnt lgkmcnt(0)
	s_barrier
	buffer_gl0_inv
	s_and_b32 exec_lo, exec_lo, vcc_lo
	s_cbranch_execz .LBB0_15
; %bb.14:
	v_lshlrev_b32_e32 v18, 4, v255
	s_mov_b32 s0, 0x1ac5701b
	s_mov_b32 s1, 0x3f4ac570
	s_mul_i32 s3, s4, 0x480
	global_load_dwordx4 v[0:3], v18, s[12:13]
	ds_read_b128 v[4:7], v223
	ds_read_b128 v[8:11], v220 offset:1152
	s_clause 0x1
	buffer_load_dword v14, off, s[60:63], 0
	buffer_load_dword v15, off, s[60:63], 0 offset:4
	s_waitcnt vmcnt(2) lgkmcnt(1)
	v_mul_f64 v[12:13], v[6:7], v[2:3]
	v_mul_f64 v[2:3], v[4:5], v[2:3]
	s_waitcnt vmcnt(1)
	v_mov_b32_e32 v16, v14
	s_waitcnt vmcnt(0)
	v_mad_u64_u32 v[14:15], null, s6, v16, 0
	s_mul_hi_u32 s6, s4, 0x480
	v_fma_f64 v[4:5], v[4:5], v[0:1], v[12:13]
	v_fma_f64 v[0:1], v[0:1], v[6:7], -v[2:3]
	v_mad_u64_u32 v[6:7], null, s4, v255, 0
	v_mov_b32_e32 v2, v15
	v_mov_b32_e32 v3, v7
	v_mad_u64_u32 v[12:13], null, s7, v16, v[2:3]
	v_mad_u64_u32 v[16:17], null, s5, v255, v[3:4]
	v_mov_b32_e32 v15, v12
	v_mul_f64 v[2:3], v[4:5], s[0:1]
	v_mul_f64 v[4:5], v[0:1], s[0:1]
	v_lshlrev_b64 v[0:1], 4, v[14:15]
	v_mov_b32_e32 v7, v16
	v_add_co_u32 v0, vcc_lo, s14, v0
	v_lshlrev_b64 v[6:7], 4, v[6:7]
	v_add_co_ci_u32_e32 v1, vcc_lo, s15, v1, vcc_lo
	v_add_co_u32 v12, vcc_lo, v0, v6
	v_add_co_ci_u32_e32 v13, vcc_lo, v1, v7, vcc_lo
	v_add_co_u32 v16, vcc_lo, v12, s3
	global_store_dwordx4 v[12:13], v[2:5], off
	global_load_dwordx4 v[2:5], v18, s[12:13] offset:1152
	s_waitcnt vmcnt(0) lgkmcnt(0)
	v_mul_f64 v[6:7], v[10:11], v[4:5]
	v_mul_f64 v[4:5], v[8:9], v[4:5]
	v_fma_f64 v[6:7], v[8:9], v[2:3], v[6:7]
	v_fma_f64 v[2:3], v[2:3], v[10:11], -v[4:5]
	v_mul_f64 v[4:5], v[6:7], s[0:1]
	v_mul_f64 v[6:7], v[2:3], s[0:1]
	v_add_co_u32 v2, s2, s12, v18
	v_add_co_ci_u32_e64 v3, null, s13, 0, s2
	s_mul_i32 s2, s5, 0x480
	s_add_i32 s2, s6, s2
	v_add_co_ci_u32_e32 v17, vcc_lo, s2, v13, vcc_lo
	v_add_co_u32 v18, vcc_lo, 0x800, v2
	v_add_co_ci_u32_e32 v19, vcc_lo, 0, v3, vcc_lo
	global_store_dwordx4 v[16:17], v[4:7], off
	global_load_dwordx4 v[4:7], v[18:19], off offset:256
	ds_read_b128 v[8:11], v220 offset:2304
	ds_read_b128 v[12:15], v220 offset:3456
	s_waitcnt vmcnt(0) lgkmcnt(1)
	v_mul_f64 v[20:21], v[10:11], v[6:7]
	v_mul_f64 v[6:7], v[8:9], v[6:7]
	v_fma_f64 v[8:9], v[8:9], v[4:5], v[20:21]
	v_fma_f64 v[6:7], v[4:5], v[10:11], -v[6:7]
	v_mul_f64 v[4:5], v[8:9], s[0:1]
	v_mul_f64 v[6:7], v[6:7], s[0:1]
	v_add_co_u32 v8, vcc_lo, v16, s3
	v_add_co_ci_u32_e32 v9, vcc_lo, s2, v17, vcc_lo
	v_add_co_u32 v16, vcc_lo, v8, s3
	v_add_co_ci_u32_e32 v17, vcc_lo, s2, v9, vcc_lo
	global_store_dwordx4 v[8:9], v[4:7], off
	global_load_dwordx4 v[4:7], v[18:19], off offset:1408
	v_add_co_u32 v18, vcc_lo, 0x1000, v2
	v_add_co_ci_u32_e32 v19, vcc_lo, 0, v3, vcc_lo
	s_waitcnt vmcnt(0) lgkmcnt(0)
	v_mul_f64 v[10:11], v[14:15], v[6:7]
	v_mul_f64 v[6:7], v[12:13], v[6:7]
	v_fma_f64 v[10:11], v[12:13], v[4:5], v[10:11]
	v_fma_f64 v[6:7], v[4:5], v[14:15], -v[6:7]
	v_mul_f64 v[4:5], v[10:11], s[0:1]
	v_mul_f64 v[6:7], v[6:7], s[0:1]
	global_store_dwordx4 v[16:17], v[4:7], off
	global_load_dwordx4 v[4:7], v[18:19], off offset:512
	ds_read_b128 v[8:11], v220 offset:4608
	ds_read_b128 v[12:15], v220 offset:5760
	s_waitcnt vmcnt(0) lgkmcnt(1)
	v_mul_f64 v[20:21], v[10:11], v[6:7]
	v_mul_f64 v[6:7], v[8:9], v[6:7]
	v_fma_f64 v[8:9], v[8:9], v[4:5], v[20:21]
	v_fma_f64 v[6:7], v[4:5], v[10:11], -v[6:7]
	v_mul_f64 v[4:5], v[8:9], s[0:1]
	v_mul_f64 v[6:7], v[6:7], s[0:1]
	v_add_co_u32 v8, vcc_lo, v16, s3
	v_add_co_ci_u32_e32 v9, vcc_lo, s2, v17, vcc_lo
	v_add_co_u32 v16, vcc_lo, v8, s3
	v_add_co_ci_u32_e32 v17, vcc_lo, s2, v9, vcc_lo
	global_store_dwordx4 v[8:9], v[4:7], off
	global_load_dwordx4 v[4:7], v[18:19], off offset:1664
	v_add_co_u32 v18, vcc_lo, 0x1800, v2
	v_add_co_ci_u32_e32 v19, vcc_lo, 0, v3, vcc_lo
	s_waitcnt vmcnt(0) lgkmcnt(0)
	v_mul_f64 v[10:11], v[14:15], v[6:7]
	v_mul_f64 v[6:7], v[12:13], v[6:7]
	v_fma_f64 v[10:11], v[12:13], v[4:5], v[10:11]
	v_fma_f64 v[6:7], v[4:5], v[14:15], -v[6:7]
	v_mul_f64 v[4:5], v[10:11], s[0:1]
	v_mul_f64 v[6:7], v[6:7], s[0:1]
	;; [unrolled: 26-line block ×3, first 2 shown]
	global_store_dwordx4 v[16:17], v[4:7], off
	global_load_dwordx4 v[4:7], v[8:9], off offset:1024
	ds_read_b128 v[8:11], v220 offset:9216
	ds_read_b128 v[12:15], v220 offset:10368
	s_waitcnt vmcnt(0) lgkmcnt(1)
	v_mul_f64 v[18:19], v[10:11], v[6:7]
	v_mul_f64 v[6:7], v[8:9], v[6:7]
	v_fma_f64 v[8:9], v[8:9], v[4:5], v[18:19]
	v_fma_f64 v[6:7], v[4:5], v[10:11], -v[6:7]
	v_mul_f64 v[4:5], v[8:9], s[0:1]
	v_mul_f64 v[6:7], v[6:7], s[0:1]
	v_add_co_u32 v8, vcc_lo, v16, s3
	v_add_co_ci_u32_e32 v9, vcc_lo, s2, v17, vcc_lo
	v_add_co_u32 v10, vcc_lo, 0x2800, v2
	v_add_co_ci_u32_e32 v11, vcc_lo, 0, v3, vcc_lo
	global_store_dwordx4 v[8:9], v[4:7], off
	global_load_dwordx4 v[4:7], v[10:11], off offset:128
	s_waitcnt vmcnt(0) lgkmcnt(0)
	v_mul_f64 v[16:17], v[14:15], v[6:7]
	v_mul_f64 v[6:7], v[12:13], v[6:7]
	v_fma_f64 v[12:13], v[12:13], v[4:5], v[16:17]
	v_fma_f64 v[6:7], v[4:5], v[14:15], -v[6:7]
	v_add_co_u32 v16, vcc_lo, v8, s3
	v_add_co_ci_u32_e32 v17, vcc_lo, s2, v9, vcc_lo
	v_mul_f64 v[4:5], v[12:13], s[0:1]
	v_mul_f64 v[6:7], v[6:7], s[0:1]
	global_store_dwordx4 v[16:17], v[4:7], off
	global_load_dwordx4 v[4:7], v[10:11], off offset:1280
	ds_read_b128 v[8:11], v220 offset:11520
	ds_read_b128 v[12:15], v220 offset:12672
	s_waitcnt vmcnt(0) lgkmcnt(1)
	v_mul_f64 v[18:19], v[10:11], v[6:7]
	v_mul_f64 v[6:7], v[8:9], v[6:7]
	v_fma_f64 v[8:9], v[8:9], v[4:5], v[18:19]
	v_fma_f64 v[6:7], v[4:5], v[10:11], -v[6:7]
	v_mul_f64 v[4:5], v[8:9], s[0:1]
	v_mul_f64 v[6:7], v[6:7], s[0:1]
	v_add_co_u32 v8, vcc_lo, v16, s3
	v_add_co_ci_u32_e32 v9, vcc_lo, s2, v17, vcc_lo
	v_add_co_u32 v10, vcc_lo, 0x3000, v2
	v_add_co_ci_u32_e32 v11, vcc_lo, 0, v3, vcc_lo
	global_store_dwordx4 v[8:9], v[4:7], off
	global_load_dwordx4 v[4:7], v[10:11], off offset:384
	s_waitcnt vmcnt(0) lgkmcnt(0)
	v_mul_f64 v[16:17], v[14:15], v[6:7]
	v_mul_f64 v[6:7], v[12:13], v[6:7]
	v_fma_f64 v[12:13], v[12:13], v[4:5], v[16:17]
	v_fma_f64 v[6:7], v[4:5], v[14:15], -v[6:7]
	v_add_co_u32 v16, vcc_lo, v8, s3
	v_add_co_ci_u32_e32 v17, vcc_lo, s2, v9, vcc_lo
	v_mul_f64 v[4:5], v[12:13], s[0:1]
	v_mul_f64 v[6:7], v[6:7], s[0:1]
	;; [unrolled: 26-line block ×3, first 2 shown]
	global_store_dwordx4 v[16:17], v[4:7], off
	global_load_dwordx4 v[4:7], v[10:11], off offset:1792
	ds_read_b128 v[8:11], v220 offset:16128
	ds_read_b128 v[12:15], v220 offset:17280
	s_waitcnt vmcnt(0) lgkmcnt(1)
	v_mul_f64 v[18:19], v[10:11], v[6:7]
	v_mul_f64 v[6:7], v[8:9], v[6:7]
	v_fma_f64 v[8:9], v[8:9], v[4:5], v[18:19]
	v_fma_f64 v[6:7], v[4:5], v[10:11], -v[6:7]
	v_mul_f64 v[4:5], v[8:9], s[0:1]
	v_mul_f64 v[6:7], v[6:7], s[0:1]
	v_add_co_u32 v8, vcc_lo, v16, s3
	v_add_co_ci_u32_e32 v9, vcc_lo, s2, v17, vcc_lo
	v_add_co_u32 v2, vcc_lo, 0x4000, v2
	v_add_co_ci_u32_e32 v3, vcc_lo, 0, v3, vcc_lo
	global_store_dwordx4 v[8:9], v[4:7], off
	global_load_dwordx4 v[2:5], v[2:3], off offset:896
	s_waitcnt vmcnt(0) lgkmcnt(0)
	v_mul_f64 v[6:7], v[14:15], v[4:5]
	v_mul_f64 v[4:5], v[12:13], v[4:5]
	v_fma_f64 v[6:7], v[12:13], v[2:3], v[6:7]
	buffer_load_dword v12, off, s[60:63], 0 offset:44 ; 4-byte Folded Reload
	v_fma_f64 v[4:5], v[2:3], v[14:15], -v[4:5]
	v_mul_f64 v[2:3], v[6:7], s[0:1]
	v_add_co_u32 v6, vcc_lo, v8, s3
	v_mul_f64 v[4:5], v[4:5], s[0:1]
	v_add_co_ci_u32_e32 v7, vcc_lo, s2, v9, vcc_lo
	global_store_dwordx4 v[6:7], v[2:5], off
	s_waitcnt vmcnt(0)
	v_lshlrev_b32_e32 v8, 4, v12
	global_load_dwordx4 v[2:5], v8, s[12:13]
	ds_read_b128 v[6:9], v220 offset:18432
	s_waitcnt vmcnt(0) lgkmcnt(0)
	v_mul_f64 v[10:11], v[8:9], v[4:5]
	v_mul_f64 v[4:5], v[6:7], v[4:5]
	v_fma_f64 v[6:7], v[6:7], v[2:3], v[10:11]
	v_fma_f64 v[4:5], v[2:3], v[8:9], -v[4:5]
	v_mad_u64_u32 v[8:9], null, s4, v12, 0
	v_mov_b32_e32 v2, v9
	v_mad_u64_u32 v[9:10], null, s5, v12, v[2:3]
	v_mul_f64 v[2:3], v[6:7], s[0:1]
	v_mul_f64 v[4:5], v[4:5], s[0:1]
	v_lshlrev_b64 v[6:7], 4, v[8:9]
	v_add_co_u32 v0, vcc_lo, v0, v6
	v_add_co_ci_u32_e32 v1, vcc_lo, v1, v7, vcc_lo
	global_store_dwordx4 v[0:1], v[2:5], off
.LBB0_15:
	s_endpgm
	.section	.rodata,"a",@progbits
	.p2align	6, 0x0
	.amdhsa_kernel bluestein_single_back_len1224_dim1_dp_op_CI_CI
		.amdhsa_group_segment_fixed_size 39168
		.amdhsa_private_segment_fixed_size 260
		.amdhsa_kernarg_size 104
		.amdhsa_user_sgpr_count 6
		.amdhsa_user_sgpr_private_segment_buffer 1
		.amdhsa_user_sgpr_dispatch_ptr 0
		.amdhsa_user_sgpr_queue_ptr 0
		.amdhsa_user_sgpr_kernarg_segment_ptr 1
		.amdhsa_user_sgpr_dispatch_id 0
		.amdhsa_user_sgpr_flat_scratch_init 0
		.amdhsa_user_sgpr_private_segment_size 0
		.amdhsa_wavefront_size32 1
		.amdhsa_uses_dynamic_stack 0
		.amdhsa_system_sgpr_private_segment_wavefront_offset 1
		.amdhsa_system_sgpr_workgroup_id_x 1
		.amdhsa_system_sgpr_workgroup_id_y 0
		.amdhsa_system_sgpr_workgroup_id_z 0
		.amdhsa_system_sgpr_workgroup_info 0
		.amdhsa_system_vgpr_workitem_id 0
		.amdhsa_next_free_vgpr 256
		.amdhsa_next_free_sgpr 64
		.amdhsa_reserve_vcc 1
		.amdhsa_reserve_flat_scratch 0
		.amdhsa_float_round_mode_32 0
		.amdhsa_float_round_mode_16_64 0
		.amdhsa_float_denorm_mode_32 3
		.amdhsa_float_denorm_mode_16_64 3
		.amdhsa_dx10_clamp 1
		.amdhsa_ieee_mode 1
		.amdhsa_fp16_overflow 0
		.amdhsa_workgroup_processor_mode 1
		.amdhsa_memory_ordered 1
		.amdhsa_forward_progress 0
		.amdhsa_shared_vgpr_count 0
		.amdhsa_exception_fp_ieee_invalid_op 0
		.amdhsa_exception_fp_denorm_src 0
		.amdhsa_exception_fp_ieee_div_zero 0
		.amdhsa_exception_fp_ieee_overflow 0
		.amdhsa_exception_fp_ieee_underflow 0
		.amdhsa_exception_fp_ieee_inexact 0
		.amdhsa_exception_int_div_zero 0
	.end_amdhsa_kernel
	.text
.Lfunc_end0:
	.size	bluestein_single_back_len1224_dim1_dp_op_CI_CI, .Lfunc_end0-bluestein_single_back_len1224_dim1_dp_op_CI_CI
                                        ; -- End function
	.section	.AMDGPU.csdata,"",@progbits
; Kernel info:
; codeLenInByte = 27096
; NumSgprs: 66
; NumVgprs: 256
; ScratchSize: 260
; MemoryBound: 0
; FloatMode: 240
; IeeeMode: 1
; LDSByteSize: 39168 bytes/workgroup (compile time only)
; SGPRBlocks: 8
; VGPRBlocks: 31
; NumSGPRsForWavesPerEU: 66
; NumVGPRsForWavesPerEU: 256
; Occupancy: 4
; WaveLimiterHint : 1
; COMPUTE_PGM_RSRC2:SCRATCH_EN: 1
; COMPUTE_PGM_RSRC2:USER_SGPR: 6
; COMPUTE_PGM_RSRC2:TRAP_HANDLER: 0
; COMPUTE_PGM_RSRC2:TGID_X_EN: 1
; COMPUTE_PGM_RSRC2:TGID_Y_EN: 0
; COMPUTE_PGM_RSRC2:TGID_Z_EN: 0
; COMPUTE_PGM_RSRC2:TIDIG_COMP_CNT: 0
	.text
	.p2alignl 6, 3214868480
	.fill 48, 4, 3214868480
	.type	__hip_cuid_a2c25b0f45066df4,@object ; @__hip_cuid_a2c25b0f45066df4
	.section	.bss,"aw",@nobits
	.globl	__hip_cuid_a2c25b0f45066df4
__hip_cuid_a2c25b0f45066df4:
	.byte	0                               ; 0x0
	.size	__hip_cuid_a2c25b0f45066df4, 1

	.ident	"AMD clang version 19.0.0git (https://github.com/RadeonOpenCompute/llvm-project roc-6.4.0 25133 c7fe45cf4b819c5991fe208aaa96edf142730f1d)"
	.section	".note.GNU-stack","",@progbits
	.addrsig
	.addrsig_sym __hip_cuid_a2c25b0f45066df4
	.amdgpu_metadata
---
amdhsa.kernels:
  - .args:
      - .actual_access:  read_only
        .address_space:  global
        .offset:         0
        .size:           8
        .value_kind:     global_buffer
      - .actual_access:  read_only
        .address_space:  global
        .offset:         8
        .size:           8
        .value_kind:     global_buffer
      - .actual_access:  read_only
        .address_space:  global
        .offset:         16
        .size:           8
        .value_kind:     global_buffer
      - .actual_access:  read_only
        .address_space:  global
        .offset:         24
        .size:           8
        .value_kind:     global_buffer
      - .actual_access:  read_only
        .address_space:  global
        .offset:         32
        .size:           8
        .value_kind:     global_buffer
      - .offset:         40
        .size:           8
        .value_kind:     by_value
      - .address_space:  global
        .offset:         48
        .size:           8
        .value_kind:     global_buffer
      - .address_space:  global
        .offset:         56
        .size:           8
        .value_kind:     global_buffer
      - .address_space:  global
        .offset:         64
        .size:           8
        .value_kind:     global_buffer
      - .address_space:  global
        .offset:         72
        .size:           8
        .value_kind:     global_buffer
      - .offset:         80
        .size:           4
        .value_kind:     by_value
      - .address_space:  global
        .offset:         88
        .size:           8
        .value_kind:     global_buffer
      - .address_space:  global
        .offset:         96
        .size:           8
        .value_kind:     global_buffer
    .group_segment_fixed_size: 39168
    .kernarg_segment_align: 8
    .kernarg_segment_size: 104
    .language:       OpenCL C
    .language_version:
      - 2
      - 0
    .max_flat_workgroup_size: 204
    .name:           bluestein_single_back_len1224_dim1_dp_op_CI_CI
    .private_segment_fixed_size: 260
    .sgpr_count:     66
    .sgpr_spill_count: 0
    .symbol:         bluestein_single_back_len1224_dim1_dp_op_CI_CI.kd
    .uniform_work_group_size: 1
    .uses_dynamic_stack: false
    .vgpr_count:     256
    .vgpr_spill_count: 72
    .wavefront_size: 32
    .workgroup_processor_mode: 1
amdhsa.target:   amdgcn-amd-amdhsa--gfx1030
amdhsa.version:
  - 1
  - 2
...

	.end_amdgpu_metadata
